;; amdgpu-corpus repo=ROCm/aiter kind=harvested arch=n/a opt=n/a

/root/src/amdgpu-assembly/repos/ROCm__aiter/hsa/gfx942/fmoe_2stages/fmoe_stage1_bf16_pertokenFp8_doweight_g1u1_16x512_pf3.co:	file format elf64-amdgpu

Disassembly of section .text:

0000000000002a00 <_ZN5aiter53fmoe_stage1_bf16_pertokenFp8_doweight_g1u1_16x512_pf3E>:
	s_and_b32 s1, s1, 0xffff                                   // 000000002A00: 8601FF01 0000FFFF
	s_load_dwordx2 s[8:9], s[0:1], 0x0                         // 000000002A08: C0060200 00000000
	s_load_dwordx2 s[20:21], s[0:1], 0x10                      // 000000002A10: C0060500 00000010
	s_load_dwordx2 s[24:25], s[0:1], 0x20                      // 000000002A18: C0060600 00000020
	s_load_dwordx2 s[48:49], s[0:1], 0x30                      // 000000002A20: C0060C00 00000030
	s_load_dwordx2 s[28:29], s[0:1], 0x40                      // 000000002A28: C0060700 00000040
	s_load_dwordx2 s[32:33], s[0:1], 0x50                      // 000000002A30: C0060800 00000050
	s_load_dwordx2 s[36:37], s[0:1], 0x60                      // 000000002A38: C0060900 00000060
	s_load_dwordx2 s[12:13], s[0:1], 0x70                      // 000000002A40: C0060300 00000070
	s_load_dwordx2 s[44:45], s[0:1], 0x80                      // 000000002A48: C0060B00 00000080
	s_mov_b32 s89, 0                                           // 000000002A50: BED90080
	s_load_dword s64, s[0:1], 0x90                             // 000000002A54: C0021000 00000090
	s_load_dword s65, s[0:1], 0xa0                             // 000000002A5C: C0021040 000000A0
	s_load_dword s66, s[0:1], 0xb0                             // 000000002A64: C0021080 000000B0
	s_load_dword s67, s[0:1], 0xc0                             // 000000002A6C: C00210C0 000000C0
	s_load_dword s68, s[0:1], 0xd0                             // 000000002A74: C0021100 000000D0
	s_load_dword s69, s[0:1], 0xe0                             // 000000002A7C: C0021140 000000E0
	s_load_dword s71, s[0:1], 0xf0                             // 000000002A84: C00211C0 000000F0
	s_load_dword s72, s[0:1], 0x100                            // 000000002A8C: C0021200 00000100
	s_load_dword s74, s[0:1], 0x110                            // 000000002A94: C0021280 00000110
	s_load_dword s76, s[0:1], 0x120                            // 000000002A9C: C0021300 00000120
	s_load_dword s56, s[0:1], 0x130                            // 000000002AA4: C0020E00 00000130
	s_load_dword s88, s[0:1], 0x140                            // 000000002AAC: C0021600 00000140
	s_load_dword s89, s[0:1], 0x150                            // 000000002AB4: C0021640 00000150
	s_load_dwordx2 s[40:41], s[0:1], 0x160                     // 000000002ABC: C0060A00 00000160
	v_lshrrev_b32_e32 v1, 10, v0                               // 000000002AC4: 2002008A
	v_lshrrev_b32_e32 v2, 10, v1                               // 000000002AC8: 2004028A
	v_and_b32_e32 v2, 0x3ff, v2                                // 000000002ACC: 260404FF 000003FF
	v_and_b32_e32 v1, 0x3ff, v1                                // 000000002AD4: 260202FF 000003FF
	v_and_b32_e32 v0, 0x3ff, v0                                // 000000002ADC: 260000FF 000003FF
	v_lshrrev_b32_e32 v3, 6, v0                                // 000000002AE4: 20060086
	v_and_b32_e32 v0, 63, v0                                   // 000000002AE8: 260000BF
	s_mov_b32 s2, s2                                           // 000000002AEC: BE820002
	s_mov_b32 s3, s3                                           // 000000002AF0: BE830003
	s_mov_b32 s4, s4                                           // 000000002AF4: BE840004
	v_readfirstlane_b32 s7, v3                                 // 000000002AF8: 7E0E0503
	s_waitcnt lgkmcnt(0)                                       // 000000002AFC: BF8CC07F
	s_and_b32 s49, s49, 0xffff                                 // 000000002B00: 8631FF31 0000FFFF
	s_load_dword s48, s[48:49], 0x0                            // 000000002B08: C0020C18 00000000
	s_and_b32 s45, s45, 0xffff                                 // 000000002B10: 862DFF2D 0000FFFF
	s_and_b32 s9, s9, 0xffff                                   // 000000002B18: 8609FF09 0000FFFF
	s_mul_i32 s60, s66, s68                                    // 000000002B20: 923C4442
	s_mul_i32 s61, s66, 4                                      // 000000002B24: 923D8442
	s_mov_b32 s22, s60                                         // 000000002B28: BE96003C
	s_mov_b32 s26, -16                                         // 000000002B2C: BE9A00D0
	s_mov_b32 s30, s61                                         // 000000002B30: BE9E003D
	s_mov_b32 s14, 64                                          // 000000002B34: BE8E00C0
	s_mov_b32 s38, -16                                         // 000000002B38: BEA600D0
	s_mov_b32 s10, -16                                         // 000000002B3C: BE8A00D0
	s_mov_b32 s34, 0x800                                       // 000000002B40: BEA200FF 00000800
	s_mov_b32 s23, 0x20000                                     // 000000002B48: BE9700FF 00020000
	s_mov_b32 s27, 0x20000                                     // 000000002B50: BE9B00FF 00020000
	s_mov_b32 s31, 0x20000                                     // 000000002B58: BE9F00FF 00020000
	s_mov_b32 s35, 0x20000                                     // 000000002B60: BEA300FF 00020000
	s_mov_b32 s15, 0x20000                                     // 000000002B68: BE8F00FF 00020000
	s_mov_b32 s39, 0x20000                                     // 000000002B70: BEA700FF 00020000
	s_mov_b32 s11, 0x20000                                     // 000000002B78: BE8B00FF 00020000
	s_and_b32 s21, s21, 0xffff                                 // 000000002B80: 8615FF15 0000FFFF
	s_and_b32 s25, s25, 0xffff                                 // 000000002B88: 8619FF19 0000FFFF
	s_and_b32 s29, s29, 0xffff                                 // 000000002B90: 861DFF1D 0000FFFF
	s_and_b32 s33, s33, 0xffff                                 // 000000002B98: 8621FF21 0000FFFF
	s_and_b32 s13, s13, 0xffff                                 // 000000002BA0: 860DFF0D 0000FFFF
	s_and_b32 s37, s37, 0xffff                                 // 000000002BA8: 8625FF25 0000FFFF
	s_or_b32 s21, s21, 0x40000                                 // 000000002BB0: 8715FF15 00040000
	s_or_b32 s25, s25, 0x40000                                 // 000000002BB8: 8719FF19 00040000
	s_or_b32 s29, s29, 0x40000                                 // 000000002BC0: 871DFF1D 00040000
	s_or_b32 s33, s33, 0x40000                                 // 000000002BC8: 8721FF21 00040000
	s_or_b32 s13, s13, 0x40000                                 // 000000002BD0: 870DFF0D 00040000
	s_or_b32 s37, s37, 0x40000                                 // 000000002BD8: 8725FF25 00040000
	s_mov_b32 s42, -16                                         // 000000002BE0: BEAA00D0
	s_mov_b32 s43, 0x20000                                     // 000000002BE4: BEAB00FF 00020000
	s_and_b32 s41, s41, 0xffff                                 // 000000002BEC: 8629FF29 0000FFFF
	s_or_b32 s41, s41, 0x40000                                 // 000000002BF4: 8729FF29 00040000
	v_accvgpr_write_b32 a207, 0                                // 000000002BFC: D3D940CF 18000080
	v_mov_b32_e32 v112, 0                                      // 000000002C04: 7EE00280
	s_waitcnt lgkmcnt(0)                                       // 000000002C08: BF8CC07F
	s_mul_i32 s60, s3, 16                                      // 000000002C0C: 923C9003
	s_cmp_lt_i32 s60, s48                                      // 000000002C10: BF04303C
	s_cbranch_scc0 label_1A1B                                  // 000000002C14: BF841992
	s_mov_b32 s80, 0                                           // 000000002C18: BED00080
	s_lshr_b32 s81, s64, s88                                   // 000000002C1C: 8F515840
	s_mul_i32 s60, s3, 4                                       // 000000002C20: 923C8403
	s_add_u32 s44, s60, s44                                    // 000000002C24: 802C2C3C
	s_addc_u32 s45, 0, s45                                     // 000000002C28: 822D2D80
	s_load_dword s5, s[44:45], 0x0                             // 000000002C2C: C0020156 00000000
	s_mul_i32 s60, s3, 16                                      // 000000002C34: 923C9003
	s_mul_i32 s60, 4, s60                                      // 000000002C38: 923C3C84
	s_add_u32 s12, s60, s12                                    // 000000002C3C: 800C0C3C
	s_addc_u32 s13, 0, s13                                     // 000000002C40: 820D0D80
	v_and_b32_e32 v4, 15, v0                                   // 000000002C44: 2608008F
	v_lshlrev_b32_e32 v4, 2, v4                                // 000000002C48: 24080882
	buffer_load_dword v31, v4, s[12:15], 0 offen               // 000000002C4C: E0501000 80031F04
	v_add_u32_e32 v4, 64, v4                                   // 000000002C54: 680808C0
	s_mul_i32 s60, 4, s7                                       // 000000002C58: 923C0784
	v_lshlrev_b32_e32 v4, 4, v0                                // 000000002C5C: 24080084
	v_add_u32_e32 v4, s60, v4                                  // 000000002C60: 6808083C
	buffer_load_dword v3, v4, s[12:15], 0 offen                // 000000002C64: E0501000 80030304
	v_mov_b32_e32 v48, 0                                       // 000000002C6C: 7E600280
	v_mov_b32_e32 v80, 0                                       // 000000002C70: 7EA00280
	v_mov_b32_e32 v49, 0                                       // 000000002C74: 7E620280
	v_mov_b32_e32 v81, 0                                       // 000000002C78: 7EA20280
	v_mov_b32_e32 v50, 0                                       // 000000002C7C: 7E640280
	v_mov_b32_e32 v82, 0                                       // 000000002C80: 7EA40280
	v_mov_b32_e32 v51, 0                                       // 000000002C84: 7E660280
	v_mov_b32_e32 v83, 0                                       // 000000002C88: 7EA60280
	v_mov_b32_e32 v52, 0                                       // 000000002C8C: 7E680280
	v_mov_b32_e32 v84, 0                                       // 000000002C90: 7EA80280
	v_mov_b32_e32 v53, 0                                       // 000000002C94: 7E6A0280
	v_mov_b32_e32 v85, 0                                       // 000000002C98: 7EAA0280
	v_mov_b32_e32 v54, 0                                       // 000000002C9C: 7E6C0280
	v_mov_b32_e32 v86, 0                                       // 000000002CA0: 7EAC0280
	v_mov_b32_e32 v55, 0                                       // 000000002CA4: 7E6E0280
	v_mov_b32_e32 v87, 0                                       // 000000002CA8: 7EAE0280
	v_mov_b32_e32 v56, 0                                       // 000000002CAC: 7E700280
	v_mov_b32_e32 v88, 0                                       // 000000002CB0: 7EB00280
	v_mov_b32_e32 v57, 0                                       // 000000002CB4: 7E720280
	v_mov_b32_e32 v89, 0                                       // 000000002CB8: 7EB20280
	v_mov_b32_e32 v58, 0                                       // 000000002CBC: 7E740280
	v_mov_b32_e32 v90, 0                                       // 000000002CC0: 7EB40280
	v_mov_b32_e32 v59, 0                                       // 000000002CC4: 7E760280
	v_mov_b32_e32 v91, 0                                       // 000000002CC8: 7EB60280
	v_mov_b32_e32 v60, 0                                       // 000000002CCC: 7E780280
	v_mov_b32_e32 v92, 0                                       // 000000002CD0: 7EB80280
	v_mov_b32_e32 v61, 0                                       // 000000002CD4: 7E7A0280
	v_mov_b32_e32 v93, 0                                       // 000000002CD8: 7EBA0280
	v_mov_b32_e32 v62, 0                                       // 000000002CDC: 7E7C0280
	v_mov_b32_e32 v94, 0                                       // 000000002CE0: 7EBC0280
	v_mov_b32_e32 v63, 0                                       // 000000002CE4: 7E7E0280
	v_mov_b32_e32 v95, 0                                       // 000000002CE8: 7EBE0280
	v_mov_b32_e32 v64, 0                                       // 000000002CEC: 7E800280
	v_mov_b32_e32 v96, 0                                       // 000000002CF0: 7EC00280
	v_mov_b32_e32 v65, 0                                       // 000000002CF4: 7E820280
	v_mov_b32_e32 v97, 0                                       // 000000002CF8: 7EC20280
	v_mov_b32_e32 v66, 0                                       // 000000002CFC: 7E840280
	v_mov_b32_e32 v98, 0                                       // 000000002D00: 7EC40280
	v_mov_b32_e32 v67, 0                                       // 000000002D04: 7E860280
	v_mov_b32_e32 v99, 0                                       // 000000002D08: 7EC60280
	v_mov_b32_e32 v68, 0                                       // 000000002D0C: 7E880280
	v_mov_b32_e32 v100, 0                                      // 000000002D10: 7EC80280
	v_mov_b32_e32 v69, 0                                       // 000000002D14: 7E8A0280
	v_mov_b32_e32 v101, 0                                      // 000000002D18: 7ECA0280
	v_mov_b32_e32 v70, 0                                       // 000000002D1C: 7E8C0280
	v_mov_b32_e32 v102, 0                                      // 000000002D20: 7ECC0280
	v_mov_b32_e32 v71, 0                                       // 000000002D24: 7E8E0280
	v_mov_b32_e32 v103, 0                                      // 000000002D28: 7ECE0280
	v_mov_b32_e32 v72, 0                                       // 000000002D2C: 7E900280
	v_mov_b32_e32 v104, 0                                      // 000000002D30: 7ED00280
	v_mov_b32_e32 v73, 0                                       // 000000002D34: 7E920280
	v_mov_b32_e32 v105, 0                                      // 000000002D38: 7ED20280
	v_mov_b32_e32 v74, 0                                       // 000000002D3C: 7E940280
	v_mov_b32_e32 v106, 0                                      // 000000002D40: 7ED40280
	v_mov_b32_e32 v75, 0                                       // 000000002D44: 7E960280
	v_mov_b32_e32 v107, 0                                      // 000000002D48: 7ED60280
	v_mov_b32_e32 v76, 0                                       // 000000002D4C: 7E980280
	v_mov_b32_e32 v108, 0                                      // 000000002D50: 7ED80280
	v_mov_b32_e32 v77, 0                                       // 000000002D54: 7E9A0280
	v_mov_b32_e32 v109, 0                                      // 000000002D58: 7EDA0280
	v_mov_b32_e32 v78, 0                                       // 000000002D5C: 7E9C0280
	v_mov_b32_e32 v110, 0                                      // 000000002D60: 7EDC0280
	v_mov_b32_e32 v79, 0                                       // 000000002D64: 7E9E0280
	v_mov_b32_e32 v111, 0                                      // 000000002D68: 7EDE0280
	s_mul_i32 s60, s2, 0x400                                   // 000000002D6C: 923CFF02 00000400
	s_cmp_eq_u32 s88, 0                                        // 000000002D74: BF068058
	s_cselect_b32 s61, 1, 2                                    // 000000002D78: 853D8281
	s_mul_i32 s60, s60, s61                                    // 000000002D7C: 923C3D3C
	s_mov_b32 s90, s8                                          // 000000002D80: BEDA0008
	s_mov_b32 s91, s9                                          // 000000002D84: BEDB0009
	s_add_u32 s8, s60, s8                                      // 000000002D88: 8008083C
	s_addc_u32 s9, 0, s9                                       // 000000002D8C: 82090980
	v_lshrrev_b32_e32 v4, 4, v0                                // 000000002D90: 20080084
	v_mul_lo_u32 v20, 34, v4                                   // 000000002D94: D2850014 000208A2
	v_and_b32_e32 v4, 15, v0                                   // 000000002D9C: 2608008F
	v_mul_lo_u32 v5, 2, v4                                     // 000000002DA0: D2850005 00020882
	v_add_u32_e32 v20, v5, v20                                 // 000000002DA8: 68282905
	s_mul_i32 s60, s7, 0x88                                    // 000000002DAC: 923CFF07 00000088
	v_add_u32_e32 v20, s60, v20                                // 000000002DB4: 6828283C
	v_lshlrev_b32_e32 v20, 2, v20                              // 000000002DB8: 24282882
	v_and_b32_e32 v4, 31, v0                                   // 000000002DBC: 2608009F
	v_lshrrev_b32_e32 v4, 1, v4                                // 000000002DC0: 20080881
	v_mul_lo_u32 v21, 34, v4                                   // 000000002DC4: D2850015 000208A2
	v_lshrrev_b32_e32 v4, 5, v0                                // 000000002DCC: 20080085
	v_mul_lo_u32 v4, 8, v4                                     // 000000002DD0: D2850004 00020888
	v_add_u32_e32 v21, v21, v4                                 // 000000002DD8: 682A0915
	v_and_b32_e32 v5, 1, v0                                    // 000000002DDC: 260A0081
	v_add_u32_e32 v21, v5, v21                                 // 000000002DE0: 682A2B05
	s_mul_i32 s60, s7, 2                                       // 000000002DE4: 923C8207
	v_add_u32_e32 v21, s60, v21                                // 000000002DE8: 682A2A3C
	v_lshlrev_b32_e32 v21, 2, v21                              // 000000002DEC: 242A2A82
	s_mul_i32 s60, s7, 0x220                                   // 000000002DF0: 923CFF07 00000220
	s_add_u32 s48, 0, s60                                      // 000000002DF8: 80303C80
	s_add_u32 s49, 0x880, s48                                  // 000000002DFC: 803130FF 00000880
	s_add_u32 s50, 0x880, s49                                  // 000000002E04: 803231FF 00000880
	v_lshrrev_b32_e32 v4, 4, v0                                // 000000002E0C: 20080084
	v_lshlrev_b32_e32 v5, 2, v4                                // 000000002E10: 240A0882
	v_and_b32_e32 v4, 15, v0                                   // 000000002E14: 2608008F
	v_lshrrev_b32_e32 v6, 2, v4                                // 000000002E18: 200C0882
	v_lshlrev_b32_e32 v6, 5, v6                                // 000000002E1C: 240C0C85
	v_add_u32_e32 v5, v6, v5                                   // 000000002E20: 680A0B06
	v_and_b32_e32 v4, 3, v0                                    // 000000002E24: 26080083
	v_mul_u32_u24_e32 v6, 0x88, v4                             // 000000002E28: 100C08FF 00000088
	v_add_u32_e32 v5, v6, v5                                   // 000000002E30: 680A0B06
	v_lshlrev_b32_e32 v2, 2, v5                                // 000000002E34: 24040A82
	s_waitcnt lgkmcnt(0)                                       // 000000002E38: BF8CC07F
	s_mul_i32 s60, s2, 0x200                                   // 000000002E3C: 923CFF02 00000200
	s_mul_i32 s60, s60, s69                                    // 000000002E44: 923C453C
	s_mul_i32 s61, s5, s72                                     // 000000002E48: 923D4805
	s_add_u32 s60, s61, s60                                    // 000000002E4C: 803C3C3D
	s_add_u32 s24, s60, s24                                    // 000000002E50: 8018183C
	s_addc_u32 s25, 0, s25                                     // 000000002E54: 82191980
	s_lshr_b32 s60, s64, s88                                   // 000000002E58: 8F3C5840
	s_mul_i32 s60, s4, s60                                     // 000000002E5C: 923C3C04
	s_lshr_b32 s60, s60, 7                                     // 000000002E60: 8F3C873C
	s_mul_i32 s60, s60, 0x800                                  // 000000002E64: 923CFF3C 00000800
	s_add_u32 s24, s60, s24                                    // 000000002E6C: 8018183C
	s_addc_u32 s25, 0, s25                                     // 000000002E70: 82191980
	s_lshr_b32 s60, s69, s88                                   // 000000002E74: 8F3C5845
	s_mul_i32 s60, s4, s60                                     // 000000002E78: 923C3C04
	s_add_u32 s20, s60, s20                                    // 000000002E7C: 8014143C
	s_addc_u32 s21, 0, s21                                     // 000000002E80: 82151580
	s_mul_i32 s60, s7, 16                                      // 000000002E84: 923C9007
	s_mul_i32 s60, s60, s69                                    // 000000002E88: 923C453C
	v_lshlrev_b32_e32 v37, 4, v0                               // 000000002E8C: 244A0084
	v_add_u32_e32 v37, s60, v37                                // 000000002E90: 684A4A3C
	s_mul_i32 s60, 64, s69                                     // 000000002E94: 923C45C0
	v_add_u32_e32 v38, s60, v37                                // 000000002E98: 684C4A3C
	v_add_u32_e32 v39, s60, v38                                // 000000002E9C: 684E4C3C
	v_add_u32_e32 v40, s60, v39                                // 000000002EA0: 68504E3C
	v_add_u32_e32 v41, s60, v40                                // 000000002EA4: 6852503C
	v_add_u32_e32 v42, s60, v41                                // 000000002EA8: 6854523C
	v_add_u32_e32 v43, s60, v42                                // 000000002EAC: 6856543C
	v_add_u32_e32 v44, s60, v43                                // 000000002EB0: 6858563C
	s_mov_b32 s84, s24                                         // 000000002EB4: BED40018
	s_mov_b32 s85, s25                                         // 000000002EB8: BED50019
	s_mov_b32 s86, s26                                         // 000000002EBC: BED6001A
	s_mov_b32 s87, s27                                         // 000000002EC0: BED7001B
	s_mul_i32 s60, s69, s65                                    // 000000002EC4: 923C4145
	s_add_u32 s84, s60, s84                                    // 000000002EC8: 8054543C
	s_addc_u32 s85, 0, s85                                     // 000000002ECC: 82555580
	v_lshrrev_b32_e32 v4, 4, v0                                // 000000002ED0: 20080084
	v_lshlrev_b32_e32 v5, 2, v4                                // 000000002ED4: 240A0882
	v_and_b32_e32 v4, 15, v0                                   // 000000002ED8: 2608008F
	v_lshrrev_b32_e32 v6, 2, v4                                // 000000002EDC: 200C0882
	v_lshlrev_b32_e32 v6, 6, v6                                // 000000002EE0: 240C0C86
	v_add_u32_e32 v5, v6, v5                                   // 000000002EE4: 680A0B06
	v_and_b32_e32 v4, 3, v0                                    // 000000002EE8: 26080083
	v_add_u32_e32 v5, v4, v5                                   // 000000002EEC: 680A0B04
	v_lshlrev_b32_e32 v22, 2, v5                               // 000000002EF0: 242C0A82
	v_add_u32_e32 v23, 0x400, v22                              // 000000002EF4: 682E2CFF 00000400
	s_mul_i32 s60, s7, 16                                      // 000000002EFC: 923C9007
	s_mul_i32 s60, s60, 4                                      // 000000002F00: 923C843C
	v_add_u32_e32 v22, s60, v22                                // 000000002F04: 682C2C3C
	v_add_u32_e32 v23, s60, v23                                // 000000002F08: 682E2E3C
	s_mul_i32 s60, s2, 0x200                                   // 000000002F0C: 923CFF02 00000200
	s_mul_i32 s60, s60, 4                                      // 000000002F14: 923C843C
	s_mul_i32 s61, s5, s74                                     // 000000002F18: 923D4A05
	s_add_u32 s61, s61, s60                                    // 000000002F1C: 803D3C3D
	s_add_u32 s32, s61, s32                                    // 000000002F20: 8020203D
	s_addc_u32 s33, 0, s33                                     // 000000002F24: 82212180
	s_mov_b32 s57, 0x80                                        // 000000002F28: BEB900FF 00000080
	s_mov_b32 s58, 0x800                                       // 000000002F30: BEBA00FF 00000800
	s_mov_b32 s83, s58                                         // 000000002F38: BED3003A
	s_mov_b32 s52, 0x7060302                                   // 000000002F3C: BEB400FF 07060302
	s_mov_b32 s53, 0x400                                       // 000000002F44: BEB500FF 00000400
	s_mov_b32 s54, 0x40100                                     // 000000002F4C: BEB600FF 00040100
	s_mov_b32 s55, 0x4020100                                   // 000000002F54: BEB700FF 04020100
	s_mov_b32 s6, 0x3fb8aa3b                                   // 000000002F5C: BE8600FF 3FB8AA3B
	s_mov_b32 s78, 0xbd92220c                                  // 000000002F64: BECE00FF BD92220C
	s_mov_b32 s79, 0xbd92220c                                  // 000000002F6C: BECF00FF BD92220C
	s_mov_b32 m0, s48                                          // 000000002F74: BEFC0030
	v_mov_b32_e32 v1, 0xbfcc4231                               // 000000002F78: 7E0202FF BFCC4231
	v_mov_b32_e32 v17, 0xffff0000                              // 000000002F80: 7E2202FF FFFF0000
	v_mov_b32_e32 v18, 0x7fff0000                              // 000000002F88: 7E2402FF 7FFF0000
	v_mov_b32_e32 v19, 0x7fff                                  // 000000002F90: 7E2602FF 00007FFF
	s_waitcnt vmcnt(0) expcnt(0) lgkmcnt(0)                    // 000000002F98: BF8C0000
	s_mul_i32 s60, s3, 16                                      // 000000002F9C: 923C9003
	s_mul_i32 s60, 4, s60                                      // 000000002FA0: 923C3C84
	s_add_u32 s40, s60, s40                                    // 000000002FA4: 8028283C
	s_addc_u32 s41, 0, s41                                     // 000000002FA8: 82292980
	v_and_b32_e32 v4, 15, v0                                   // 000000002FAC: 2608008F
	v_lshlrev_b32_e32 v4, 2, v4                                // 000000002FB0: 24080882
	buffer_load_dword v112, v4, s[40:43], 0 offen              // 000000002FB4: E0501000 800A7004
	v_lshrrev_b32_e32 v4, 5, v0                                // 000000002FBC: 20080085
	v_xor_b32_e32 v5, 1, v4                                    // 000000002FC0: 2A0A0881
	v_readlane_b32 s82, v3, 0                                  // 000000002FC4: D2890052 00010103
	s_and_b32 s82, s82, 0xffffff                               // 000000002FCC: 8652FF52 00FFFFFF
	v_mul_lo_u32 v6, v5, s82                                   // 000000002FD4: D2850006 0000A505
	v_readlane_b32 s82, v3, 1                                  // 000000002FDC: D2890052 00010303
	s_and_b32 s82, s82, 0xffffff                               // 000000002FE4: 8652FF52 00FFFFFF
	v_mul_lo_u32 v7, v4, s82                                   // 000000002FEC: D2850007 0000A504
	v_add_u32_e32 v35, v6, v7                                  // 000000002FF4: 68460F06
	v_mul_lo_u32 v35, v35, s68                                 // 000000002FF8: D2850023 00008923
	v_readlane_b32 s82, v3, 2                                  // 000000003000: D2890052 00010503
	s_and_b32 s82, s82, 0xffffff                               // 000000003008: 8652FF52 00FFFFFF
	v_mul_lo_u32 v6, v5, s82                                   // 000000003010: D2850006 0000A505
	v_readlane_b32 s82, v3, 3                                  // 000000003018: D2890052 00010703
	s_and_b32 s82, s82, 0xffffff                               // 000000003020: 8652FF52 00FFFFFF
	v_mul_lo_u32 v7, v4, s82                                   // 000000003028: D2850007 0000A504
	v_add_u32_e32 v36, v6, v7                                  // 000000003030: 68480F06
	v_mul_lo_u32 v36, v36, s68                                 // 000000003034: D2850024 00008924
	v_and_b32_e32 v4, 31, v0                                   // 00000000303C: 2608009F
	v_lshlrev_b32_e32 v4, 2, v4                                // 000000003040: 24080882
	v_add_u32_e32 v35, v35, v4                                 // 000000003044: 68460923
	v_add_u32_e32 v36, v36, v4                                 // 000000003048: 68480924
	v_and_b32_e32 v31, 0xffffff, v31                           // 00000000304C: 263E3EFF 00FFFFFF
	v_lshlrev_b32_e32 v31, 2, v31                              // 000000003054: 243E3E82
	s_lshl_b32 s3, s66, 2                                      // 000000003058: 8E038242
	buffer_load_dword v32, v31, s[28:31], 0 offen              // 00000000305C: E0501000 8007201F
	buffer_load_dword v25, v22, s[32:35], 0 offen              // 000000003064: E0501000 80081916
	buffer_load_dword v26, v23, s[32:35], 0 offen              // 00000000306C: E0501000 80081A17
	s_mul_i32 s60, 4, s65                                      // 000000003074: 923C4184
	s_add_u32 s32, s60, s32                                    // 000000003078: 8020203C
	s_addc_u32 s33, 0, s33                                     // 00000000307C: 82212180
	buffer_load_dword v28, v22, s[32:35], 0 offen              // 000000003080: E0501000 80081C16
	buffer_load_dword v29, v23, s[32:35], 0 offen              // 000000003088: E0501000 80081D17
	buffer_load_dword v35, s[20:23], 0 offen lds               // 000000003090: E0511000 80050023
	s_add_u32 m0, 0x100, s48                                   // 000000003098: 807C30FF 00000100
	buffer_load_dword v36, s[20:23], 0 offen lds               // 0000000030A0: E0511000 80050024
	s_add_u32 m0, 0, s49                                       // 0000000030A8: 807C3180
	s_add_u32 s20, s57, s20                                    // 0000000030AC: 80141439
	s_addc_u32 s21, 0, s21                                     // 0000000030B0: 82151580
	buffer_load_dwordx4 a[16:19], v37, s[24:27], 0 offen       // 0000000030B4: E05C1000 80861025
	buffer_load_dwordx4 a[20:23], v37, s[24:27], 0 offen offset:1024// 0000000030BC: E05C1400 80861425
	buffer_load_dwordx4 a[24:27], v38, s[24:27], 0 offen       // 0000000030C4: E05C1000 80861826
	buffer_load_dwordx4 a[28:31], v38, s[24:27], 0 offen offset:1024// 0000000030CC: E05C1400 80861C26
	buffer_load_dwordx4 a[32:35], v39, s[24:27], 0 offen       // 0000000030D4: E05C1000 80862027
	buffer_load_dwordx4 a[36:39], v39, s[24:27], 0 offen offset:1024// 0000000030DC: E05C1400 80862427
	buffer_load_dwordx4 a[40:43], v40, s[24:27], 0 offen       // 0000000030E4: E05C1000 80862828
	buffer_load_dwordx4 a[44:47], v40, s[24:27], 0 offen offset:1024// 0000000030EC: E05C1400 80862C28
	buffer_load_dwordx4 a[48:51], v41, s[24:27], 0 offen       // 0000000030F4: E05C1000 80863029
	buffer_load_dwordx4 a[52:55], v41, s[24:27], 0 offen offset:1024// 0000000030FC: E05C1400 80863429
	buffer_load_dwordx4 a[56:59], v42, s[24:27], 0 offen       // 000000003104: E05C1000 8086382A
	buffer_load_dwordx4 a[60:63], v42, s[24:27], 0 offen offset:1024// 00000000310C: E05C1400 80863C2A
	buffer_load_dwordx4 a[64:67], v43, s[24:27], 0 offen       // 000000003114: E05C1000 8086402B
	buffer_load_dwordx4 a[68:71], v43, s[24:27], 0 offen offset:1024// 00000000311C: E05C1400 8086442B
	buffer_load_dwordx4 a[72:75], v44, s[24:27], 0 offen       // 000000003124: E05C1000 8086482C
	buffer_load_dwordx4 a[76:79], v44, s[24:27], 0 offen offset:1024// 00000000312C: E05C1400 80864C2C
	s_add_u32 s24, s58, s24                                    // 000000003134: 8018183A
	s_addc_u32 s25, 0, s25                                     // 000000003138: 82191980
	buffer_load_dword v35, s[20:23], 0 offen lds               // 00000000313C: E0511000 80050023
	s_add_u32 m0, 0x100, s49                                   // 000000003144: 807C31FF 00000100
	buffer_load_dword v36, s[20:23], 0 offen lds               // 00000000314C: E0511000 80050024
	s_add_u32 m0, 0, s50                                       // 000000003154: 807C3280
	s_add_u32 s20, s57, s20                                    // 000000003158: 80141439
	s_addc_u32 s21, 0, s21                                     // 00000000315C: 82151580
	buffer_load_dwordx4 a[80:83], v37, s[84:87], 0 offen       // 000000003160: E05C1000 80955025
	buffer_load_dwordx4 a[84:87], v37, s[84:87], 0 offen offset:1024// 000000003168: E05C1400 80955425
	buffer_load_dwordx4 a[88:91], v38, s[84:87], 0 offen       // 000000003170: E05C1000 80955826
	buffer_load_dwordx4 a[92:95], v38, s[84:87], 0 offen offset:1024// 000000003178: E05C1400 80955C26
	buffer_load_dwordx4 a[96:99], v39, s[84:87], 0 offen       // 000000003180: E05C1000 80956027
	buffer_load_dwordx4 a[100:103], v39, s[84:87], 0 offen offset:1024// 000000003188: E05C1400 80956427
	buffer_load_dwordx4 a[104:107], v40, s[84:87], 0 offen     // 000000003190: E05C1000 80956828
	buffer_load_dwordx4 a[108:111], v40, s[84:87], 0 offen offset:1024// 000000003198: E05C1400 80956C28
	buffer_load_dwordx4 a[112:115], v41, s[84:87], 0 offen     // 0000000031A0: E05C1000 80957029
	buffer_load_dwordx4 a[116:119], v41, s[84:87], 0 offen offset:1024// 0000000031A8: E05C1400 80957429
	buffer_load_dwordx4 a[120:123], v42, s[84:87], 0 offen     // 0000000031B0: E05C1000 8095782A
	buffer_load_dwordx4 a[124:127], v42, s[84:87], 0 offen offset:1024// 0000000031B8: E05C1400 80957C2A
	buffer_load_dwordx4 a[128:131], v43, s[84:87], 0 offen     // 0000000031C0: E05C1000 8095802B
	buffer_load_dwordx4 a[132:135], v43, s[84:87], 0 offen offset:1024// 0000000031C8: E05C1400 8095842B
	buffer_load_dwordx4 a[136:139], v44, s[84:87], 0 offen     // 0000000031D0: E05C1000 8095882C
	buffer_load_dwordx4 a[140:143], v44, s[84:87], 0 offen offset:1024// 0000000031D8: E05C1400 80958C2C
	s_add_u32 s84, s83, s84                                    // 0000000031E0: 80545453
	s_addc_u32 s85, 0, s85                                     // 0000000031E4: 82555580
	s_waitcnt vmcnt(34)                                        // 0000000031E8: BF8C8F72
	s_barrier                                                  // 0000000031EC: BF8A0000
	ds_read_b128 a[0:3], v2                                    // 0000000031F0: DBFE0000 00000002
	ds_read_b128 a[4:7], v2 offset:64                          // 0000000031F8: DBFE0040 04000002
	s_cmp_lt_i32 s7, 2                                         // 000000003200: BF048207
	s_cbranch_scc0 label_0E10                                  // 000000003204: BF840C0B

0000000000003208 <label_0202>:
	s_waitcnt vmcnt(18) lgkmcnt(0)                             // 000000003208: BF8C4072
	v_mfma_f32_16x16x32_fp8_fp8 v[48:51], a[16:17], a[0:1], v[48:51]// 00000000320C: D3F30030 1CC20110
	v_mfma_f32_16x16x32_fp8_fp8 v[48:51], a[18:19], a[2:3], v[48:51]// 000000003214: D3F30030 1CC20512
	buffer_load_dwordx4 a[144:147], v37, s[24:27], 0 offen     // 00000000321C: E05C1000 80869025
	v_mfma_f32_16x16x32_fp8_fp8 v[48:51], a[20:21], a[4:5], v[48:51]// 000000003224: D3F30030 1CC20914
	v_mfma_f32_16x16x32_fp8_fp8 v[48:51], a[22:23], a[6:7], v[48:51]// 00000000322C: D3F30030 1CC20D16
	v_mfma_f32_16x16x32_fp8_fp8 v[52:55], a[24:25], a[0:1], v[52:55]// 000000003234: D3F30034 1CD20118
	v_mfma_f32_16x16x32_fp8_fp8 v[52:55], a[26:27], a[2:3], v[52:55]// 00000000323C: D3F30034 1CD2051A
	buffer_load_dwordx4 a[148:151], v37, s[24:27], 0 offen offset:1024// 000000003244: E05C1400 80869425
	v_mfma_f32_16x16x32_fp8_fp8 v[52:55], a[28:29], a[4:5], v[52:55]// 00000000324C: D3F30034 1CD2091C
	v_mfma_f32_16x16x32_fp8_fp8 v[52:55], a[30:31], a[6:7], v[52:55]// 000000003254: D3F30034 1CD20D1E
	v_mfma_f32_16x16x32_fp8_fp8 v[56:59], a[32:33], a[0:1], v[56:59]// 00000000325C: D3F30038 1CE20120
	v_mfma_f32_16x16x32_fp8_fp8 v[56:59], a[34:35], a[2:3], v[56:59]// 000000003264: D3F30038 1CE20522
	buffer_load_dwordx4 a[152:155], v38, s[24:27], 0 offen     // 00000000326C: E05C1000 80869826
	v_mfma_f32_16x16x32_fp8_fp8 v[56:59], a[36:37], a[4:5], v[56:59]// 000000003274: D3F30038 1CE20924
	v_mfma_f32_16x16x32_fp8_fp8 v[56:59], a[38:39], a[6:7], v[56:59]// 00000000327C: D3F30038 1CE20D26
	v_mfma_f32_16x16x32_fp8_fp8 v[60:63], a[40:41], a[0:1], v[60:63]// 000000003284: D3F3003C 1CF20128
	v_mfma_f32_16x16x32_fp8_fp8 v[60:63], a[42:43], a[2:3], v[60:63]// 00000000328C: D3F3003C 1CF2052A
	buffer_load_dwordx4 a[156:159], v38, s[24:27], 0 offen offset:1024// 000000003294: E05C1400 80869C26
	v_mfma_f32_16x16x32_fp8_fp8 v[60:63], a[44:45], a[4:5], v[60:63]// 00000000329C: D3F3003C 1CF2092C
	v_mfma_f32_16x16x32_fp8_fp8 v[60:63], a[46:47], a[6:7], v[60:63]// 0000000032A4: D3F3003C 1CF20D2E
	v_mfma_f32_16x16x32_fp8_fp8 v[64:67], a[48:49], a[0:1], v[64:67]// 0000000032AC: D3F30040 1D020130
	v_mfma_f32_16x16x32_fp8_fp8 v[64:67], a[50:51], a[2:3], v[64:67]// 0000000032B4: D3F30040 1D020532
	buffer_load_dwordx4 a[160:163], v39, s[24:27], 0 offen     // 0000000032BC: E05C1000 8086A027
	v_mfma_f32_16x16x32_fp8_fp8 v[64:67], a[52:53], a[4:5], v[64:67]// 0000000032C4: D3F30040 1D020934
	v_mfma_f32_16x16x32_fp8_fp8 v[64:67], a[54:55], a[6:7], v[64:67]// 0000000032CC: D3F30040 1D020D36
	v_mfma_f32_16x16x32_fp8_fp8 v[68:71], a[56:57], a[0:1], v[68:71]// 0000000032D4: D3F30044 1D120138
	v_mfma_f32_16x16x32_fp8_fp8 v[68:71], a[58:59], a[2:3], v[68:71]// 0000000032DC: D3F30044 1D12053A
	buffer_load_dwordx4 a[164:167], v39, s[24:27], 0 offen offset:1024// 0000000032E4: E05C1400 8086A427
	v_mfma_f32_16x16x32_fp8_fp8 v[68:71], a[60:61], a[4:5], v[68:71]// 0000000032EC: D3F30044 1D12093C
	v_mfma_f32_16x16x32_fp8_fp8 v[68:71], a[62:63], a[6:7], v[68:71]// 0000000032F4: D3F30044 1D120D3E
	v_mfma_f32_16x16x32_fp8_fp8 v[72:75], a[64:65], a[0:1], v[72:75]// 0000000032FC: D3F30048 1D220140
	v_mfma_f32_16x16x32_fp8_fp8 v[72:75], a[66:67], a[2:3], v[72:75]// 000000003304: D3F30048 1D220542
	buffer_load_dwordx4 a[168:171], v40, s[24:27], 0 offen     // 00000000330C: E05C1000 8086A828
	v_mfma_f32_16x16x32_fp8_fp8 v[72:75], a[68:69], a[4:5], v[72:75]// 000000003314: D3F30048 1D220944
	v_mfma_f32_16x16x32_fp8_fp8 v[72:75], a[70:71], a[6:7], v[72:75]// 00000000331C: D3F30048 1D220D46
	v_mfma_f32_16x16x32_fp8_fp8 v[76:79], a[72:73], a[0:1], v[76:79]// 000000003324: D3F3004C 1D320148
	v_mfma_f32_16x16x32_fp8_fp8 v[76:79], a[74:75], a[2:3], v[76:79]// 00000000332C: D3F3004C 1D32054A
	buffer_load_dwordx4 a[172:175], v40, s[24:27], 0 offen offset:1024// 000000003334: E05C1400 8086AC28
	v_mfma_f32_16x16x32_fp8_fp8 v[76:79], a[76:77], a[4:5], v[76:79]// 00000000333C: D3F3004C 1D32094C
	v_mfma_f32_16x16x32_fp8_fp8 v[76:79], a[78:79], a[6:7], v[76:79]// 000000003344: D3F3004C 1D320D4E
	buffer_load_dwordx4 a[176:179], v41, s[24:27], 0 offen     // 00000000334C: E05C1000 8086B029
	buffer_load_dwordx4 a[180:183], v41, s[24:27], 0 offen offset:1024// 000000003354: E05C1400 8086B429
	buffer_load_dwordx4 a[184:187], v42, s[24:27], 0 offen     // 00000000335C: E05C1000 8086B82A
	buffer_load_dwordx4 a[188:191], v42, s[24:27], 0 offen offset:1024// 000000003364: E05C1400 8086BC2A
	buffer_load_dwordx4 a[192:195], v43, s[24:27], 0 offen     // 00000000336C: E05C1000 8086C02B
	buffer_load_dwordx4 a[196:199], v43, s[24:27], 0 offen offset:1024// 000000003374: E05C1400 8086C42B
	buffer_load_dwordx4 a[200:203], v44, s[24:27], 0 offen     // 00000000337C: E05C1000 8086C82C
	buffer_load_dwordx4 a[204:207], v44, s[24:27], 0 offen offset:1024// 000000003384: E05C1400 8086CC2C
	buffer_load_dword v35, s[20:23], 0 offen lds               // 00000000338C: E0511000 80050023
	s_add_u32 m0, 0x100, s50                                   // 000000003394: 807C32FF 00000100
	buffer_load_dword v36, s[20:23], 0 offen lds               // 00000000339C: E0511000 80050024
	s_add_u32 m0, 0, s48                                       // 0000000033A4: 807C3080
	s_waitcnt vmcnt(18)                                        // 0000000033A8: BF8C4F72
	s_barrier                                                  // 0000000033AC: BF8A0000
	v_mfma_f32_16x16x32_fp8_fp8 v[80:83], a[80:81], a[0:1], v[80:83]// 0000000033B0: D3F30050 1D420150
	v_mfma_f32_16x16x32_fp8_fp8 v[80:83], a[82:83], a[2:3], v[80:83]// 0000000033B8: D3F30050 1D420552
	buffer_load_dwordx4 a[16:19], v37, s[84:87], 0 offen       // 0000000033C0: E05C1000 80951025
	v_mfma_f32_16x16x32_fp8_fp8 v[80:83], a[84:85], a[4:5], v[80:83]// 0000000033C8: D3F30050 1D420954
	v_mfma_f32_16x16x32_fp8_fp8 v[80:83], a[86:87], a[6:7], v[80:83]// 0000000033D0: D3F30050 1D420D56
	ds_read_b128 a[8:11], v2 offset:2176                       // 0000000033D8: DBFE0880 08000002
	ds_read_b128 a[12:15], v2 offset:2240                      // 0000000033E0: DBFE08C0 0C000002
	v_mfma_f32_16x16x32_fp8_fp8 v[84:87], a[88:89], a[0:1], v[84:87]// 0000000033E8: D3F30054 1D520158
	v_mfma_f32_16x16x32_fp8_fp8 v[84:87], a[90:91], a[2:3], v[84:87]// 0000000033F0: D3F30054 1D52055A
	buffer_load_dwordx4 a[20:23], v37, s[84:87], 0 offen offset:1024// 0000000033F8: E05C1400 80951425
	v_mfma_f32_16x16x32_fp8_fp8 v[84:87], a[92:93], a[4:5], v[84:87]// 000000003400: D3F30054 1D52095C
	v_mfma_f32_16x16x32_fp8_fp8 v[84:87], a[94:95], a[6:7], v[84:87]// 000000003408: D3F30054 1D520D5E
	v_mfma_f32_16x16x32_fp8_fp8 v[88:91], a[96:97], a[0:1], v[88:91]// 000000003410: D3F30058 1D620160
	v_mfma_f32_16x16x32_fp8_fp8 v[88:91], a[98:99], a[2:3], v[88:91]// 000000003418: D3F30058 1D620562
	buffer_load_dwordx4 a[24:27], v38, s[84:87], 0 offen       // 000000003420: E05C1000 80951826
	v_mfma_f32_16x16x32_fp8_fp8 v[88:91], a[100:101], a[4:5], v[88:91]// 000000003428: D3F30058 1D620964
	v_mfma_f32_16x16x32_fp8_fp8 v[88:91], a[102:103], a[6:7], v[88:91]// 000000003430: D3F30058 1D620D66
	v_mfma_f32_16x16x32_fp8_fp8 v[92:95], a[104:105], a[0:1], v[92:95]// 000000003438: D3F3005C 1D720168
	v_mfma_f32_16x16x32_fp8_fp8 v[92:95], a[106:107], a[2:3], v[92:95]// 000000003440: D3F3005C 1D72056A
	buffer_load_dwordx4 a[28:31], v38, s[84:87], 0 offen offset:1024// 000000003448: E05C1400 80951C26
	v_mfma_f32_16x16x32_fp8_fp8 v[92:95], a[108:109], a[4:5], v[92:95]// 000000003450: D3F3005C 1D72096C
	v_mfma_f32_16x16x32_fp8_fp8 v[92:95], a[110:111], a[6:7], v[92:95]// 000000003458: D3F3005C 1D720D6E
	v_mfma_f32_16x16x32_fp8_fp8 v[96:99], a[112:113], a[0:1], v[96:99]// 000000003460: D3F30060 1D820170
	v_mfma_f32_16x16x32_fp8_fp8 v[96:99], a[114:115], a[2:3], v[96:99]// 000000003468: D3F30060 1D820572
	buffer_load_dwordx4 a[32:35], v39, s[84:87], 0 offen       // 000000003470: E05C1000 80952027
	v_mfma_f32_16x16x32_fp8_fp8 v[96:99], a[116:117], a[4:5], v[96:99]// 000000003478: D3F30060 1D820974
	v_mfma_f32_16x16x32_fp8_fp8 v[96:99], a[118:119], a[6:7], v[96:99]// 000000003480: D3F30060 1D820D76
	v_mfma_f32_16x16x32_fp8_fp8 v[100:103], a[120:121], a[0:1], v[100:103]// 000000003488: D3F30064 1D920178
	v_mfma_f32_16x16x32_fp8_fp8 v[100:103], a[122:123], a[2:3], v[100:103]// 000000003490: D3F30064 1D92057A
	buffer_load_dwordx4 a[36:39], v39, s[84:87], 0 offen offset:1024// 000000003498: E05C1400 80952427
	v_mfma_f32_16x16x32_fp8_fp8 v[100:103], a[124:125], a[4:5], v[100:103]// 0000000034A0: D3F30064 1D92097C
	v_mfma_f32_16x16x32_fp8_fp8 v[100:103], a[126:127], a[6:7], v[100:103]// 0000000034A8: D3F30064 1D920D7E
	v_mfma_f32_16x16x32_fp8_fp8 v[104:107], a[128:129], a[0:1], v[104:107]// 0000000034B0: D3F30068 1DA20180
	s_add_u32 s60, 0x180, s80                                  // 0000000034B8: 803C50FF 00000180
	s_cmp_lt_u32 s60, s81                                      // 0000000034C0: BF0A513C
	s_cselect_b32 s57, s57, 0                                  // 0000000034C4: 85398039
	v_mfma_f32_16x16x32_fp8_fp8 v[104:107], a[130:131], a[2:3], v[104:107]// 0000000034C8: D3F30068 1DA20582
	buffer_load_dwordx4 a[40:43], v40, s[84:87], 0 offen       // 0000000034D0: E05C1000 80952828
	s_add_u32 s60, 0x100, s80                                  // 0000000034D8: 803C50FF 00000100
	s_cmp_lt_u32 s60, s81                                      // 0000000034E0: BF0A513C
	s_cselect_b32 s58, s58, 0                                  // 0000000034E4: 853A803A
	v_mfma_f32_16x16x32_fp8_fp8 v[104:107], a[132:133], a[4:5], v[104:107]// 0000000034E8: D3F30068 1DA20984
	s_add_u32 s60, 0x100, s80                                  // 0000000034F0: 803C50FF 00000100
	s_cmp_lt_u32 s60, s81                                      // 0000000034F8: BF0A513C
	s_cselect_b32 s83, s83, 0                                  // 0000000034FC: 85538053
	v_mfma_f32_16x16x32_fp8_fp8 v[104:107], a[134:135], a[6:7], v[104:107]// 000000003500: D3F30068 1DA20D86
	s_add_u32 s24, s58, s24                                    // 000000003508: 8018183A
	s_addc_u32 s25, 0, s25                                     // 00000000350C: 82191980
	v_mfma_f32_16x16x32_fp8_fp8 v[108:111], a[136:137], a[0:1], v[108:111]// 000000003510: D3F3006C 1DB20188
	s_add_u32 s20, s57, s20                                    // 000000003518: 80141439
	s_addc_u32 s21, 0, s21                                     // 00000000351C: 82151580
	v_mfma_f32_16x16x32_fp8_fp8 v[108:111], a[138:139], a[2:3], v[108:111]// 000000003520: D3F3006C 1DB2058A
	buffer_load_dwordx4 a[44:47], v40, s[84:87], 0 offen offset:1024// 000000003528: E05C1400 80952C28
	v_mfma_f32_16x16x32_fp8_fp8 v[108:111], a[140:141], a[4:5], v[108:111]// 000000003530: D3F3006C 1DB2098C
	v_mfma_f32_16x16x32_fp8_fp8 v[108:111], a[142:143], a[6:7], v[108:111]// 000000003538: D3F3006C 1DB20D8E
	buffer_load_dwordx4 a[48:51], v41, s[84:87], 0 offen       // 000000003540: E05C1000 80953029
	buffer_load_dwordx4 a[52:55], v41, s[84:87], 0 offen offset:1024// 000000003548: E05C1400 80953429
	buffer_load_dwordx4 a[56:59], v42, s[84:87], 0 offen       // 000000003550: E05C1000 8095382A
	buffer_load_dwordx4 a[60:63], v42, s[84:87], 0 offen offset:1024// 000000003558: E05C1400 80953C2A
	buffer_load_dwordx4 a[64:67], v43, s[84:87], 0 offen       // 000000003560: E05C1000 8095402B
	buffer_load_dwordx4 a[68:71], v43, s[84:87], 0 offen offset:1024// 000000003568: E05C1400 8095442B
	buffer_load_dwordx4 a[72:75], v44, s[84:87], 0 offen       // 000000003570: E05C1000 8095482C
	buffer_load_dwordx4 a[76:79], v44, s[84:87], 0 offen offset:1024// 000000003578: E05C1400 80954C2C
	s_add_u32 s84, s83, s84                                    // 000000003580: 80545453
	s_addc_u32 s85, 0, s85                                     // 000000003584: 82555580
	s_addk_i32 s80, 0x80                                       // 000000003588: B7500080
	s_cmp_lt_i32 s80, s81                                      // 00000000358C: BF045150
	s_cbranch_scc0 label_0755                                  // 000000003590: BF840470
	s_waitcnt vmcnt(18) lgkmcnt(0)                             // 000000003594: BF8C4072
	v_mfma_f32_16x16x32_fp8_fp8 v[48:51], a[144:145], a[8:9], v[48:51]// 000000003598: D3F30030 1CC21190
	v_mfma_f32_16x16x32_fp8_fp8 v[48:51], a[146:147], a[10:11], v[48:51]// 0000000035A0: D3F30030 1CC21592
	buffer_load_dwordx4 a[80:83], v37, s[24:27], 0 offen       // 0000000035A8: E05C1000 80865025
	v_mfma_f32_16x16x32_fp8_fp8 v[48:51], a[148:149], a[12:13], v[48:51]// 0000000035B0: D3F30030 1CC21994
	v_mfma_f32_16x16x32_fp8_fp8 v[48:51], a[150:151], a[14:15], v[48:51]// 0000000035B8: D3F30030 1CC21D96
	v_mfma_f32_16x16x32_fp8_fp8 v[52:55], a[152:153], a[8:9], v[52:55]// 0000000035C0: D3F30034 1CD21198
	v_mfma_f32_16x16x32_fp8_fp8 v[52:55], a[154:155], a[10:11], v[52:55]// 0000000035C8: D3F30034 1CD2159A
	buffer_load_dwordx4 a[84:87], v37, s[24:27], 0 offen offset:1024// 0000000035D0: E05C1400 80865425
	v_mfma_f32_16x16x32_fp8_fp8 v[52:55], a[156:157], a[12:13], v[52:55]// 0000000035D8: D3F30034 1CD2199C
	v_mfma_f32_16x16x32_fp8_fp8 v[52:55], a[158:159], a[14:15], v[52:55]// 0000000035E0: D3F30034 1CD21D9E
	v_mfma_f32_16x16x32_fp8_fp8 v[56:59], a[160:161], a[8:9], v[56:59]// 0000000035E8: D3F30038 1CE211A0
	v_mfma_f32_16x16x32_fp8_fp8 v[56:59], a[162:163], a[10:11], v[56:59]// 0000000035F0: D3F30038 1CE215A2
	buffer_load_dwordx4 a[88:91], v38, s[24:27], 0 offen       // 0000000035F8: E05C1000 80865826
	v_mfma_f32_16x16x32_fp8_fp8 v[56:59], a[164:165], a[12:13], v[56:59]// 000000003600: D3F30038 1CE219A4
	v_mfma_f32_16x16x32_fp8_fp8 v[56:59], a[166:167], a[14:15], v[56:59]// 000000003608: D3F30038 1CE21DA6
	v_mfma_f32_16x16x32_fp8_fp8 v[60:63], a[168:169], a[8:9], v[60:63]// 000000003610: D3F3003C 1CF211A8
	v_mfma_f32_16x16x32_fp8_fp8 v[60:63], a[170:171], a[10:11], v[60:63]// 000000003618: D3F3003C 1CF215AA
	buffer_load_dwordx4 a[92:95], v38, s[24:27], 0 offen offset:1024// 000000003620: E05C1400 80865C26
	v_mfma_f32_16x16x32_fp8_fp8 v[60:63], a[172:173], a[12:13], v[60:63]// 000000003628: D3F3003C 1CF219AC
	v_mfma_f32_16x16x32_fp8_fp8 v[60:63], a[174:175], a[14:15], v[60:63]// 000000003630: D3F3003C 1CF21DAE
	v_mfma_f32_16x16x32_fp8_fp8 v[64:67], a[176:177], a[8:9], v[64:67]// 000000003638: D3F30040 1D0211B0
	v_mfma_f32_16x16x32_fp8_fp8 v[64:67], a[178:179], a[10:11], v[64:67]// 000000003640: D3F30040 1D0215B2
	buffer_load_dwordx4 a[96:99], v39, s[24:27], 0 offen       // 000000003648: E05C1000 80866027
	v_mfma_f32_16x16x32_fp8_fp8 v[64:67], a[180:181], a[12:13], v[64:67]// 000000003650: D3F30040 1D0219B4
	v_mfma_f32_16x16x32_fp8_fp8 v[64:67], a[182:183], a[14:15], v[64:67]// 000000003658: D3F30040 1D021DB6
	v_mfma_f32_16x16x32_fp8_fp8 v[68:71], a[184:185], a[8:9], v[68:71]// 000000003660: D3F30044 1D1211B8
	v_mfma_f32_16x16x32_fp8_fp8 v[68:71], a[186:187], a[10:11], v[68:71]// 000000003668: D3F30044 1D1215BA
	buffer_load_dwordx4 a[100:103], v39, s[24:27], 0 offen offset:1024// 000000003670: E05C1400 80866427
	v_mfma_f32_16x16x32_fp8_fp8 v[68:71], a[188:189], a[12:13], v[68:71]// 000000003678: D3F30044 1D1219BC
	v_mfma_f32_16x16x32_fp8_fp8 v[68:71], a[190:191], a[14:15], v[68:71]// 000000003680: D3F30044 1D121DBE
	v_mfma_f32_16x16x32_fp8_fp8 v[72:75], a[192:193], a[8:9], v[72:75]// 000000003688: D3F30048 1D2211C0
	v_mfma_f32_16x16x32_fp8_fp8 v[72:75], a[194:195], a[10:11], v[72:75]// 000000003690: D3F30048 1D2215C2
	buffer_load_dwordx4 a[104:107], v40, s[24:27], 0 offen     // 000000003698: E05C1000 80866828
	v_mfma_f32_16x16x32_fp8_fp8 v[72:75], a[196:197], a[12:13], v[72:75]// 0000000036A0: D3F30048 1D2219C4
	v_mfma_f32_16x16x32_fp8_fp8 v[72:75], a[198:199], a[14:15], v[72:75]// 0000000036A8: D3F30048 1D221DC6
	v_mfma_f32_16x16x32_fp8_fp8 v[76:79], a[200:201], a[8:9], v[76:79]// 0000000036B0: D3F3004C 1D3211C8
	v_mfma_f32_16x16x32_fp8_fp8 v[76:79], a[202:203], a[10:11], v[76:79]// 0000000036B8: D3F3004C 1D3215CA
	buffer_load_dwordx4 a[108:111], v40, s[24:27], 0 offen offset:1024// 0000000036C0: E05C1400 80866C28
	v_mfma_f32_16x16x32_fp8_fp8 v[76:79], a[204:205], a[12:13], v[76:79]// 0000000036C8: D3F3004C 1D3219CC
	v_mfma_f32_16x16x32_fp8_fp8 v[76:79], a[206:207], a[14:15], v[76:79]// 0000000036D0: D3F3004C 1D321DCE
	buffer_load_dwordx4 a[112:115], v41, s[24:27], 0 offen     // 0000000036D8: E05C1000 80867029
	buffer_load_dwordx4 a[116:119], v41, s[24:27], 0 offen offset:1024// 0000000036E0: E05C1400 80867429
	buffer_load_dwordx4 a[120:123], v42, s[24:27], 0 offen     // 0000000036E8: E05C1000 8086782A
	buffer_load_dwordx4 a[124:127], v42, s[24:27], 0 offen offset:1024// 0000000036F0: E05C1400 80867C2A
	buffer_load_dwordx4 a[128:131], v43, s[24:27], 0 offen     // 0000000036F8: E05C1000 8086802B
	buffer_load_dwordx4 a[132:135], v43, s[24:27], 0 offen offset:1024// 000000003700: E05C1400 8086842B
	buffer_load_dwordx4 a[136:139], v44, s[24:27], 0 offen     // 000000003708: E05C1000 8086882C
	buffer_load_dwordx4 a[140:143], v44, s[24:27], 0 offen offset:1024// 000000003710: E05C1400 80868C2C
	buffer_load_dword v35, s[20:23], 0 offen lds               // 000000003718: E0511000 80050023
	s_add_u32 m0, 0x100, s48                                   // 000000003720: 807C30FF 00000100
	buffer_load_dword v36, s[20:23], 0 offen lds               // 000000003728: E0511000 80050024
	s_add_u32 m0, 0, s49                                       // 000000003730: 807C3180
	s_waitcnt vmcnt(18)                                        // 000000003734: BF8C4F72
	s_barrier                                                  // 000000003738: BF8A0000
	v_mfma_f32_16x16x32_fp8_fp8 v[80:83], a[16:17], a[8:9], v[80:83]// 00000000373C: D3F30050 1D421110
	v_mfma_f32_16x16x32_fp8_fp8 v[80:83], a[18:19], a[10:11], v[80:83]// 000000003744: D3F30050 1D421512
	buffer_load_dwordx4 a[144:147], v37, s[84:87], 0 offen     // 00000000374C: E05C1000 80959025
	v_mfma_f32_16x16x32_fp8_fp8 v[80:83], a[20:21], a[12:13], v[80:83]// 000000003754: D3F30050 1D421914
	v_mfma_f32_16x16x32_fp8_fp8 v[80:83], a[22:23], a[14:15], v[80:83]// 00000000375C: D3F30050 1D421D16
	ds_read_b128 a[0:3], v2 offset:4352                        // 000000003764: DBFE1100 00000002
	ds_read_b128 a[4:7], v2 offset:4416                        // 00000000376C: DBFE1140 04000002
	v_mfma_f32_16x16x32_fp8_fp8 v[84:87], a[24:25], a[8:9], v[84:87]// 000000003774: D3F30054 1D521118
	v_mfma_f32_16x16x32_fp8_fp8 v[84:87], a[26:27], a[10:11], v[84:87]// 00000000377C: D3F30054 1D52151A
	buffer_load_dwordx4 a[148:151], v37, s[84:87], 0 offen offset:1024// 000000003784: E05C1400 80959425
	v_mfma_f32_16x16x32_fp8_fp8 v[84:87], a[28:29], a[12:13], v[84:87]// 00000000378C: D3F30054 1D52191C
	v_mfma_f32_16x16x32_fp8_fp8 v[84:87], a[30:31], a[14:15], v[84:87]// 000000003794: D3F30054 1D521D1E
	v_mfma_f32_16x16x32_fp8_fp8 v[88:91], a[32:33], a[8:9], v[88:91]// 00000000379C: D3F30058 1D621120
	v_mfma_f32_16x16x32_fp8_fp8 v[88:91], a[34:35], a[10:11], v[88:91]// 0000000037A4: D3F30058 1D621522
	buffer_load_dwordx4 a[152:155], v38, s[84:87], 0 offen     // 0000000037AC: E05C1000 80959826
	v_mfma_f32_16x16x32_fp8_fp8 v[88:91], a[36:37], a[12:13], v[88:91]// 0000000037B4: D3F30058 1D621924
	v_mfma_f32_16x16x32_fp8_fp8 v[88:91], a[38:39], a[14:15], v[88:91]// 0000000037BC: D3F30058 1D621D26
	v_mfma_f32_16x16x32_fp8_fp8 v[92:95], a[40:41], a[8:9], v[92:95]// 0000000037C4: D3F3005C 1D721128
	v_mfma_f32_16x16x32_fp8_fp8 v[92:95], a[42:43], a[10:11], v[92:95]// 0000000037CC: D3F3005C 1D72152A
	buffer_load_dwordx4 a[156:159], v38, s[84:87], 0 offen offset:1024// 0000000037D4: E05C1400 80959C26
	v_mfma_f32_16x16x32_fp8_fp8 v[92:95], a[44:45], a[12:13], v[92:95]// 0000000037DC: D3F3005C 1D72192C
	v_mfma_f32_16x16x32_fp8_fp8 v[92:95], a[46:47], a[14:15], v[92:95]// 0000000037E4: D3F3005C 1D721D2E
	v_mfma_f32_16x16x32_fp8_fp8 v[96:99], a[48:49], a[8:9], v[96:99]// 0000000037EC: D3F30060 1D821130
	v_mfma_f32_16x16x32_fp8_fp8 v[96:99], a[50:51], a[10:11], v[96:99]// 0000000037F4: D3F30060 1D821532
	buffer_load_dwordx4 a[160:163], v39, s[84:87], 0 offen     // 0000000037FC: E05C1000 8095A027
	v_mfma_f32_16x16x32_fp8_fp8 v[96:99], a[52:53], a[12:13], v[96:99]// 000000003804: D3F30060 1D821934
	v_mfma_f32_16x16x32_fp8_fp8 v[96:99], a[54:55], a[14:15], v[96:99]// 00000000380C: D3F30060 1D821D36
	v_mfma_f32_16x16x32_fp8_fp8 v[100:103], a[56:57], a[8:9], v[100:103]// 000000003814: D3F30064 1D921138
	v_mfma_f32_16x16x32_fp8_fp8 v[100:103], a[58:59], a[10:11], v[100:103]// 00000000381C: D3F30064 1D92153A
	buffer_load_dwordx4 a[164:167], v39, s[84:87], 0 offen offset:1024// 000000003824: E05C1400 8095A427
	v_mfma_f32_16x16x32_fp8_fp8 v[100:103], a[60:61], a[12:13], v[100:103]// 00000000382C: D3F30064 1D92193C
	v_mfma_f32_16x16x32_fp8_fp8 v[100:103], a[62:63], a[14:15], v[100:103]// 000000003834: D3F30064 1D921D3E
	v_mfma_f32_16x16x32_fp8_fp8 v[104:107], a[64:65], a[8:9], v[104:107]// 00000000383C: D3F30068 1DA21140
	s_add_u32 s60, 0x180, s80                                  // 000000003844: 803C50FF 00000180
	s_cmp_lt_u32 s60, s81                                      // 00000000384C: BF0A513C
	s_cselect_b32 s57, s57, 0                                  // 000000003850: 85398039
	v_mfma_f32_16x16x32_fp8_fp8 v[104:107], a[66:67], a[10:11], v[104:107]// 000000003854: D3F30068 1DA21542
	buffer_load_dwordx4 a[168:171], v40, s[84:87], 0 offen     // 00000000385C: E05C1000 8095A828
	s_add_u32 s60, 0x100, s80                                  // 000000003864: 803C50FF 00000100
	s_cmp_lt_u32 s60, s81                                      // 00000000386C: BF0A513C
	s_cselect_b32 s58, s58, 0                                  // 000000003870: 853A803A
	v_mfma_f32_16x16x32_fp8_fp8 v[104:107], a[68:69], a[12:13], v[104:107]// 000000003874: D3F30068 1DA21944
	s_add_u32 s60, 0x100, s80                                  // 00000000387C: 803C50FF 00000100
	s_cmp_lt_u32 s60, s81                                      // 000000003884: BF0A513C
	s_cselect_b32 s83, s83, 0                                  // 000000003888: 85538053
	v_mfma_f32_16x16x32_fp8_fp8 v[104:107], a[70:71], a[14:15], v[104:107]// 00000000388C: D3F30068 1DA21D46
	s_add_u32 s24, s58, s24                                    // 000000003894: 8018183A
	s_addc_u32 s25, 0, s25                                     // 000000003898: 82191980
	v_mfma_f32_16x16x32_fp8_fp8 v[108:111], a[72:73], a[8:9], v[108:111]// 00000000389C: D3F3006C 1DB21148
	s_add_u32 s20, s57, s20                                    // 0000000038A4: 80141439
	s_addc_u32 s21, 0, s21                                     // 0000000038A8: 82151580
	v_mfma_f32_16x16x32_fp8_fp8 v[108:111], a[74:75], a[10:11], v[108:111]// 0000000038AC: D3F3006C 1DB2154A
	buffer_load_dwordx4 a[172:175], v40, s[84:87], 0 offen offset:1024// 0000000038B4: E05C1400 8095AC28
	v_mfma_f32_16x16x32_fp8_fp8 v[108:111], a[76:77], a[12:13], v[108:111]// 0000000038BC: D3F3006C 1DB2194C
	v_mfma_f32_16x16x32_fp8_fp8 v[108:111], a[78:79], a[14:15], v[108:111]// 0000000038C4: D3F3006C 1DB21D4E
	buffer_load_dwordx4 a[176:179], v41, s[84:87], 0 offen     // 0000000038CC: E05C1000 8095B029
	buffer_load_dwordx4 a[180:183], v41, s[84:87], 0 offen offset:1024// 0000000038D4: E05C1400 8095B429
	buffer_load_dwordx4 a[184:187], v42, s[84:87], 0 offen     // 0000000038DC: E05C1000 8095B82A
	buffer_load_dwordx4 a[188:191], v42, s[84:87], 0 offen offset:1024// 0000000038E4: E05C1400 8095BC2A
	buffer_load_dwordx4 a[192:195], v43, s[84:87], 0 offen     // 0000000038EC: E05C1000 8095C02B
	buffer_load_dwordx4 a[196:199], v43, s[84:87], 0 offen offset:1024// 0000000038F4: E05C1400 8095C42B
	buffer_load_dwordx4 a[200:203], v44, s[84:87], 0 offen     // 0000000038FC: E05C1000 8095C82C
	buffer_load_dwordx4 a[204:207], v44, s[84:87], 0 offen offset:1024// 000000003904: E05C1400 8095CC2C
	s_add_u32 s84, s83, s84                                    // 00000000390C: 80545453
	s_addc_u32 s85, 0, s85                                     // 000000003910: 82555580
	s_addk_i32 s80, 0x80                                       // 000000003914: B7500080
	s_cmp_lt_i32 s80, s81                                      // 000000003918: BF045150
	s_cbranch_scc0 label_0755                                  // 00000000391C: BF84038D
	s_waitcnt vmcnt(18) lgkmcnt(0)                             // 000000003920: BF8C4072
	v_mfma_f32_16x16x32_fp8_fp8 v[48:51], a[80:81], a[0:1], v[48:51]// 000000003924: D3F30030 1CC20150
	v_mfma_f32_16x16x32_fp8_fp8 v[48:51], a[82:83], a[2:3], v[48:51]// 00000000392C: D3F30030 1CC20552
	buffer_load_dwordx4 a[16:19], v37, s[24:27], 0 offen       // 000000003934: E05C1000 80861025
	v_mfma_f32_16x16x32_fp8_fp8 v[48:51], a[84:85], a[4:5], v[48:51]// 00000000393C: D3F30030 1CC20954
	v_mfma_f32_16x16x32_fp8_fp8 v[48:51], a[86:87], a[6:7], v[48:51]// 000000003944: D3F30030 1CC20D56
	v_mfma_f32_16x16x32_fp8_fp8 v[52:55], a[88:89], a[0:1], v[52:55]// 00000000394C: D3F30034 1CD20158
	v_mfma_f32_16x16x32_fp8_fp8 v[52:55], a[90:91], a[2:3], v[52:55]// 000000003954: D3F30034 1CD2055A
	buffer_load_dwordx4 a[20:23], v37, s[24:27], 0 offen offset:1024// 00000000395C: E05C1400 80861425
	v_mfma_f32_16x16x32_fp8_fp8 v[52:55], a[92:93], a[4:5], v[52:55]// 000000003964: D3F30034 1CD2095C
	v_mfma_f32_16x16x32_fp8_fp8 v[52:55], a[94:95], a[6:7], v[52:55]// 00000000396C: D3F30034 1CD20D5E
	v_mfma_f32_16x16x32_fp8_fp8 v[56:59], a[96:97], a[0:1], v[56:59]// 000000003974: D3F30038 1CE20160
	v_mfma_f32_16x16x32_fp8_fp8 v[56:59], a[98:99], a[2:3], v[56:59]// 00000000397C: D3F30038 1CE20562
	buffer_load_dwordx4 a[24:27], v38, s[24:27], 0 offen       // 000000003984: E05C1000 80861826
	v_mfma_f32_16x16x32_fp8_fp8 v[56:59], a[100:101], a[4:5], v[56:59]// 00000000398C: D3F30038 1CE20964
	v_mfma_f32_16x16x32_fp8_fp8 v[56:59], a[102:103], a[6:7], v[56:59]// 000000003994: D3F30038 1CE20D66
	v_mfma_f32_16x16x32_fp8_fp8 v[60:63], a[104:105], a[0:1], v[60:63]// 00000000399C: D3F3003C 1CF20168
	v_mfma_f32_16x16x32_fp8_fp8 v[60:63], a[106:107], a[2:3], v[60:63]// 0000000039A4: D3F3003C 1CF2056A
	buffer_load_dwordx4 a[28:31], v38, s[24:27], 0 offen offset:1024// 0000000039AC: E05C1400 80861C26
	v_mfma_f32_16x16x32_fp8_fp8 v[60:63], a[108:109], a[4:5], v[60:63]// 0000000039B4: D3F3003C 1CF2096C
	v_mfma_f32_16x16x32_fp8_fp8 v[60:63], a[110:111], a[6:7], v[60:63]// 0000000039BC: D3F3003C 1CF20D6E
	v_mfma_f32_16x16x32_fp8_fp8 v[64:67], a[112:113], a[0:1], v[64:67]// 0000000039C4: D3F30040 1D020170
	v_mfma_f32_16x16x32_fp8_fp8 v[64:67], a[114:115], a[2:3], v[64:67]// 0000000039CC: D3F30040 1D020572
	buffer_load_dwordx4 a[32:35], v39, s[24:27], 0 offen       // 0000000039D4: E05C1000 80862027
	v_mfma_f32_16x16x32_fp8_fp8 v[64:67], a[116:117], a[4:5], v[64:67]// 0000000039DC: D3F30040 1D020974
	v_mfma_f32_16x16x32_fp8_fp8 v[64:67], a[118:119], a[6:7], v[64:67]// 0000000039E4: D3F30040 1D020D76
	v_mfma_f32_16x16x32_fp8_fp8 v[68:71], a[120:121], a[0:1], v[68:71]// 0000000039EC: D3F30044 1D120178
	v_mfma_f32_16x16x32_fp8_fp8 v[68:71], a[122:123], a[2:3], v[68:71]// 0000000039F4: D3F30044 1D12057A
	buffer_load_dwordx4 a[36:39], v39, s[24:27], 0 offen offset:1024// 0000000039FC: E05C1400 80862427
	v_mfma_f32_16x16x32_fp8_fp8 v[68:71], a[124:125], a[4:5], v[68:71]// 000000003A04: D3F30044 1D12097C
	v_mfma_f32_16x16x32_fp8_fp8 v[68:71], a[126:127], a[6:7], v[68:71]// 000000003A0C: D3F30044 1D120D7E
	v_mfma_f32_16x16x32_fp8_fp8 v[72:75], a[128:129], a[0:1], v[72:75]// 000000003A14: D3F30048 1D220180
	v_mfma_f32_16x16x32_fp8_fp8 v[72:75], a[130:131], a[2:3], v[72:75]// 000000003A1C: D3F30048 1D220582
	buffer_load_dwordx4 a[40:43], v40, s[24:27], 0 offen       // 000000003A24: E05C1000 80862828
	v_mfma_f32_16x16x32_fp8_fp8 v[72:75], a[132:133], a[4:5], v[72:75]// 000000003A2C: D3F30048 1D220984
	v_mfma_f32_16x16x32_fp8_fp8 v[72:75], a[134:135], a[6:7], v[72:75]// 000000003A34: D3F30048 1D220D86
	v_mfma_f32_16x16x32_fp8_fp8 v[76:79], a[136:137], a[0:1], v[76:79]// 000000003A3C: D3F3004C 1D320188
	v_mfma_f32_16x16x32_fp8_fp8 v[76:79], a[138:139], a[2:3], v[76:79]// 000000003A44: D3F3004C 1D32058A
	buffer_load_dwordx4 a[44:47], v40, s[24:27], 0 offen offset:1024// 000000003A4C: E05C1400 80862C28
	v_mfma_f32_16x16x32_fp8_fp8 v[76:79], a[140:141], a[4:5], v[76:79]// 000000003A54: D3F3004C 1D32098C
	v_mfma_f32_16x16x32_fp8_fp8 v[76:79], a[142:143], a[6:7], v[76:79]// 000000003A5C: D3F3004C 1D320D8E
	buffer_load_dwordx4 a[48:51], v41, s[24:27], 0 offen       // 000000003A64: E05C1000 80863029
	buffer_load_dwordx4 a[52:55], v41, s[24:27], 0 offen offset:1024// 000000003A6C: E05C1400 80863429
	buffer_load_dwordx4 a[56:59], v42, s[24:27], 0 offen       // 000000003A74: E05C1000 8086382A
	buffer_load_dwordx4 a[60:63], v42, s[24:27], 0 offen offset:1024// 000000003A7C: E05C1400 80863C2A
	buffer_load_dwordx4 a[64:67], v43, s[24:27], 0 offen       // 000000003A84: E05C1000 8086402B
	buffer_load_dwordx4 a[68:71], v43, s[24:27], 0 offen offset:1024// 000000003A8C: E05C1400 8086442B
	buffer_load_dwordx4 a[72:75], v44, s[24:27], 0 offen       // 000000003A94: E05C1000 8086482C
	buffer_load_dwordx4 a[76:79], v44, s[24:27], 0 offen offset:1024// 000000003A9C: E05C1400 80864C2C
	buffer_load_dword v35, s[20:23], 0 offen lds               // 000000003AA4: E0511000 80050023
	s_add_u32 m0, 0x100, s49                                   // 000000003AAC: 807C31FF 00000100
	buffer_load_dword v36, s[20:23], 0 offen lds               // 000000003AB4: E0511000 80050024
	s_add_u32 m0, 0, s50                                       // 000000003ABC: 807C3280
	s_waitcnt vmcnt(18)                                        // 000000003AC0: BF8C4F72
	s_barrier                                                  // 000000003AC4: BF8A0000
	v_mfma_f32_16x16x32_fp8_fp8 v[80:83], a[144:145], a[0:1], v[80:83]// 000000003AC8: D3F30050 1D420190
	v_mfma_f32_16x16x32_fp8_fp8 v[80:83], a[146:147], a[2:3], v[80:83]// 000000003AD0: D3F30050 1D420592
	buffer_load_dwordx4 a[80:83], v37, s[84:87], 0 offen       // 000000003AD8: E05C1000 80955025
	v_mfma_f32_16x16x32_fp8_fp8 v[80:83], a[148:149], a[4:5], v[80:83]// 000000003AE0: D3F30050 1D420994
	v_mfma_f32_16x16x32_fp8_fp8 v[80:83], a[150:151], a[6:7], v[80:83]// 000000003AE8: D3F30050 1D420D96
	ds_read_b128 a[8:11], v2                                   // 000000003AF0: DBFE0000 08000002
	ds_read_b128 a[12:15], v2 offset:64                        // 000000003AF8: DBFE0040 0C000002
	v_mfma_f32_16x16x32_fp8_fp8 v[84:87], a[152:153], a[0:1], v[84:87]// 000000003B00: D3F30054 1D520198
	v_mfma_f32_16x16x32_fp8_fp8 v[84:87], a[154:155], a[2:3], v[84:87]// 000000003B08: D3F30054 1D52059A
	buffer_load_dwordx4 a[84:87], v37, s[84:87], 0 offen offset:1024// 000000003B10: E05C1400 80955425
	v_mfma_f32_16x16x32_fp8_fp8 v[84:87], a[156:157], a[4:5], v[84:87]// 000000003B18: D3F30054 1D52099C
	v_mfma_f32_16x16x32_fp8_fp8 v[84:87], a[158:159], a[6:7], v[84:87]// 000000003B20: D3F30054 1D520D9E
	v_mfma_f32_16x16x32_fp8_fp8 v[88:91], a[160:161], a[0:1], v[88:91]// 000000003B28: D3F30058 1D6201A0
	v_mfma_f32_16x16x32_fp8_fp8 v[88:91], a[162:163], a[2:3], v[88:91]// 000000003B30: D3F30058 1D6205A2
	buffer_load_dwordx4 a[88:91], v38, s[84:87], 0 offen       // 000000003B38: E05C1000 80955826
	v_mfma_f32_16x16x32_fp8_fp8 v[88:91], a[164:165], a[4:5], v[88:91]// 000000003B40: D3F30058 1D6209A4
	v_mfma_f32_16x16x32_fp8_fp8 v[88:91], a[166:167], a[6:7], v[88:91]// 000000003B48: D3F30058 1D620DA6
	v_mfma_f32_16x16x32_fp8_fp8 v[92:95], a[168:169], a[0:1], v[92:95]// 000000003B50: D3F3005C 1D7201A8
	v_mfma_f32_16x16x32_fp8_fp8 v[92:95], a[170:171], a[2:3], v[92:95]// 000000003B58: D3F3005C 1D7205AA
	buffer_load_dwordx4 a[92:95], v38, s[84:87], 0 offen offset:1024// 000000003B60: E05C1400 80955C26
	v_mfma_f32_16x16x32_fp8_fp8 v[92:95], a[172:173], a[4:5], v[92:95]// 000000003B68: D3F3005C 1D7209AC
	v_mfma_f32_16x16x32_fp8_fp8 v[92:95], a[174:175], a[6:7], v[92:95]// 000000003B70: D3F3005C 1D720DAE
	v_mfma_f32_16x16x32_fp8_fp8 v[96:99], a[176:177], a[0:1], v[96:99]// 000000003B78: D3F30060 1D8201B0
	v_mfma_f32_16x16x32_fp8_fp8 v[96:99], a[178:179], a[2:3], v[96:99]// 000000003B80: D3F30060 1D8205B2
	buffer_load_dwordx4 a[96:99], v39, s[84:87], 0 offen       // 000000003B88: E05C1000 80956027
	v_mfma_f32_16x16x32_fp8_fp8 v[96:99], a[180:181], a[4:5], v[96:99]// 000000003B90: D3F30060 1D8209B4
	v_mfma_f32_16x16x32_fp8_fp8 v[96:99], a[182:183], a[6:7], v[96:99]// 000000003B98: D3F30060 1D820DB6
	v_mfma_f32_16x16x32_fp8_fp8 v[100:103], a[184:185], a[0:1], v[100:103]// 000000003BA0: D3F30064 1D9201B8
	v_mfma_f32_16x16x32_fp8_fp8 v[100:103], a[186:187], a[2:3], v[100:103]// 000000003BA8: D3F30064 1D9205BA
	buffer_load_dwordx4 a[100:103], v39, s[84:87], 0 offen offset:1024// 000000003BB0: E05C1400 80956427
	v_mfma_f32_16x16x32_fp8_fp8 v[100:103], a[188:189], a[4:5], v[100:103]// 000000003BB8: D3F30064 1D9209BC
	v_mfma_f32_16x16x32_fp8_fp8 v[100:103], a[190:191], a[6:7], v[100:103]// 000000003BC0: D3F30064 1D920DBE
	v_mfma_f32_16x16x32_fp8_fp8 v[104:107], a[192:193], a[0:1], v[104:107]// 000000003BC8: D3F30068 1DA201C0
	s_add_u32 s60, 0x180, s80                                  // 000000003BD0: 803C50FF 00000180
	s_cmp_lt_u32 s60, s81                                      // 000000003BD8: BF0A513C
	s_cselect_b32 s57, s57, 0                                  // 000000003BDC: 85398039
	v_mfma_f32_16x16x32_fp8_fp8 v[104:107], a[194:195], a[2:3], v[104:107]// 000000003BE0: D3F30068 1DA205C2
	buffer_load_dwordx4 a[104:107], v40, s[84:87], 0 offen     // 000000003BE8: E05C1000 80956828
	s_add_u32 s60, 0x100, s80                                  // 000000003BF0: 803C50FF 00000100
	s_cmp_lt_u32 s60, s81                                      // 000000003BF8: BF0A513C
	s_cselect_b32 s58, s58, 0                                  // 000000003BFC: 853A803A
	v_mfma_f32_16x16x32_fp8_fp8 v[104:107], a[196:197], a[4:5], v[104:107]// 000000003C00: D3F30068 1DA209C4
	s_add_u32 s60, 0x100, s80                                  // 000000003C08: 803C50FF 00000100
	s_cmp_lt_u32 s60, s81                                      // 000000003C10: BF0A513C
	s_cselect_b32 s83, s83, 0                                  // 000000003C14: 85538053
	v_mfma_f32_16x16x32_fp8_fp8 v[104:107], a[198:199], a[6:7], v[104:107]// 000000003C18: D3F30068 1DA20DC6
	s_add_u32 s24, s58, s24                                    // 000000003C20: 8018183A
	s_addc_u32 s25, 0, s25                                     // 000000003C24: 82191980
	v_mfma_f32_16x16x32_fp8_fp8 v[108:111], a[200:201], a[0:1], v[108:111]// 000000003C28: D3F3006C 1DB201C8
	s_add_u32 s20, s57, s20                                    // 000000003C30: 80141439
	s_addc_u32 s21, 0, s21                                     // 000000003C34: 82151580
	v_mfma_f32_16x16x32_fp8_fp8 v[108:111], a[202:203], a[2:3], v[108:111]// 000000003C38: D3F3006C 1DB205CA
	buffer_load_dwordx4 a[108:111], v40, s[84:87], 0 offen offset:1024// 000000003C40: E05C1400 80956C28
	v_mfma_f32_16x16x32_fp8_fp8 v[108:111], a[204:205], a[4:5], v[108:111]// 000000003C48: D3F3006C 1DB209CC
	v_mfma_f32_16x16x32_fp8_fp8 v[108:111], a[206:207], a[6:7], v[108:111]// 000000003C50: D3F3006C 1DB20DCE
	buffer_load_dwordx4 a[112:115], v41, s[84:87], 0 offen     // 000000003C58: E05C1000 80957029
	buffer_load_dwordx4 a[116:119], v41, s[84:87], 0 offen offset:1024// 000000003C60: E05C1400 80957429
	buffer_load_dwordx4 a[120:123], v42, s[84:87], 0 offen     // 000000003C68: E05C1000 8095782A
	buffer_load_dwordx4 a[124:127], v42, s[84:87], 0 offen offset:1024// 000000003C70: E05C1400 80957C2A
	buffer_load_dwordx4 a[128:131], v43, s[84:87], 0 offen     // 000000003C78: E05C1000 8095802B
	buffer_load_dwordx4 a[132:135], v43, s[84:87], 0 offen offset:1024// 000000003C80: E05C1400 8095842B
	buffer_load_dwordx4 a[136:139], v44, s[84:87], 0 offen     // 000000003C88: E05C1000 8095882C
	buffer_load_dwordx4 a[140:143], v44, s[84:87], 0 offen offset:1024// 000000003C90: E05C1400 80958C2C
	s_add_u32 s84, s83, s84                                    // 000000003C98: 80545453
	s_addc_u32 s85, 0, s85                                     // 000000003C9C: 82555580
	s_addk_i32 s80, 0x80                                       // 000000003CA0: B7500080
	s_cmp_lt_i32 s80, s81                                      // 000000003CA4: BF045150
	s_cbranch_scc0 label_0755                                  // 000000003CA8: BF8402AA
	s_waitcnt vmcnt(18) lgkmcnt(0)                             // 000000003CAC: BF8C4072
	v_mfma_f32_16x16x32_fp8_fp8 v[48:51], a[16:17], a[8:9], v[48:51]// 000000003CB0: D3F30030 1CC21110
	v_mfma_f32_16x16x32_fp8_fp8 v[48:51], a[18:19], a[10:11], v[48:51]// 000000003CB8: D3F30030 1CC21512
	buffer_load_dwordx4 a[144:147], v37, s[24:27], 0 offen     // 000000003CC0: E05C1000 80869025
	v_mfma_f32_16x16x32_fp8_fp8 v[48:51], a[20:21], a[12:13], v[48:51]// 000000003CC8: D3F30030 1CC21914
	v_mfma_f32_16x16x32_fp8_fp8 v[48:51], a[22:23], a[14:15], v[48:51]// 000000003CD0: D3F30030 1CC21D16
	v_mfma_f32_16x16x32_fp8_fp8 v[52:55], a[24:25], a[8:9], v[52:55]// 000000003CD8: D3F30034 1CD21118
	v_mfma_f32_16x16x32_fp8_fp8 v[52:55], a[26:27], a[10:11], v[52:55]// 000000003CE0: D3F30034 1CD2151A
	buffer_load_dwordx4 a[148:151], v37, s[24:27], 0 offen offset:1024// 000000003CE8: E05C1400 80869425
	v_mfma_f32_16x16x32_fp8_fp8 v[52:55], a[28:29], a[12:13], v[52:55]// 000000003CF0: D3F30034 1CD2191C
	v_mfma_f32_16x16x32_fp8_fp8 v[52:55], a[30:31], a[14:15], v[52:55]// 000000003CF8: D3F30034 1CD21D1E
	v_mfma_f32_16x16x32_fp8_fp8 v[56:59], a[32:33], a[8:9], v[56:59]// 000000003D00: D3F30038 1CE21120
	v_mfma_f32_16x16x32_fp8_fp8 v[56:59], a[34:35], a[10:11], v[56:59]// 000000003D08: D3F30038 1CE21522
	buffer_load_dwordx4 a[152:155], v38, s[24:27], 0 offen     // 000000003D10: E05C1000 80869826
	v_mfma_f32_16x16x32_fp8_fp8 v[56:59], a[36:37], a[12:13], v[56:59]// 000000003D18: D3F30038 1CE21924
	v_mfma_f32_16x16x32_fp8_fp8 v[56:59], a[38:39], a[14:15], v[56:59]// 000000003D20: D3F30038 1CE21D26
	v_mfma_f32_16x16x32_fp8_fp8 v[60:63], a[40:41], a[8:9], v[60:63]// 000000003D28: D3F3003C 1CF21128
	v_mfma_f32_16x16x32_fp8_fp8 v[60:63], a[42:43], a[10:11], v[60:63]// 000000003D30: D3F3003C 1CF2152A
	buffer_load_dwordx4 a[156:159], v38, s[24:27], 0 offen offset:1024// 000000003D38: E05C1400 80869C26
	v_mfma_f32_16x16x32_fp8_fp8 v[60:63], a[44:45], a[12:13], v[60:63]// 000000003D40: D3F3003C 1CF2192C
	v_mfma_f32_16x16x32_fp8_fp8 v[60:63], a[46:47], a[14:15], v[60:63]// 000000003D48: D3F3003C 1CF21D2E
	v_mfma_f32_16x16x32_fp8_fp8 v[64:67], a[48:49], a[8:9], v[64:67]// 000000003D50: D3F30040 1D021130
	v_mfma_f32_16x16x32_fp8_fp8 v[64:67], a[50:51], a[10:11], v[64:67]// 000000003D58: D3F30040 1D021532
	buffer_load_dwordx4 a[160:163], v39, s[24:27], 0 offen     // 000000003D60: E05C1000 8086A027
	v_mfma_f32_16x16x32_fp8_fp8 v[64:67], a[52:53], a[12:13], v[64:67]// 000000003D68: D3F30040 1D021934
	v_mfma_f32_16x16x32_fp8_fp8 v[64:67], a[54:55], a[14:15], v[64:67]// 000000003D70: D3F30040 1D021D36
	v_mfma_f32_16x16x32_fp8_fp8 v[68:71], a[56:57], a[8:9], v[68:71]// 000000003D78: D3F30044 1D121138
	v_mfma_f32_16x16x32_fp8_fp8 v[68:71], a[58:59], a[10:11], v[68:71]// 000000003D80: D3F30044 1D12153A
	buffer_load_dwordx4 a[164:167], v39, s[24:27], 0 offen offset:1024// 000000003D88: E05C1400 8086A427
	v_mfma_f32_16x16x32_fp8_fp8 v[68:71], a[60:61], a[12:13], v[68:71]// 000000003D90: D3F30044 1D12193C
	v_mfma_f32_16x16x32_fp8_fp8 v[68:71], a[62:63], a[14:15], v[68:71]// 000000003D98: D3F30044 1D121D3E
	v_mfma_f32_16x16x32_fp8_fp8 v[72:75], a[64:65], a[8:9], v[72:75]// 000000003DA0: D3F30048 1D221140
	v_mfma_f32_16x16x32_fp8_fp8 v[72:75], a[66:67], a[10:11], v[72:75]// 000000003DA8: D3F30048 1D221542
	buffer_load_dwordx4 a[168:171], v40, s[24:27], 0 offen     // 000000003DB0: E05C1000 8086A828
	v_mfma_f32_16x16x32_fp8_fp8 v[72:75], a[68:69], a[12:13], v[72:75]// 000000003DB8: D3F30048 1D221944
	v_mfma_f32_16x16x32_fp8_fp8 v[72:75], a[70:71], a[14:15], v[72:75]// 000000003DC0: D3F30048 1D221D46
	v_mfma_f32_16x16x32_fp8_fp8 v[76:79], a[72:73], a[8:9], v[76:79]// 000000003DC8: D3F3004C 1D321148
	v_mfma_f32_16x16x32_fp8_fp8 v[76:79], a[74:75], a[10:11], v[76:79]// 000000003DD0: D3F3004C 1D32154A
	buffer_load_dwordx4 a[172:175], v40, s[24:27], 0 offen offset:1024// 000000003DD8: E05C1400 8086AC28
	v_mfma_f32_16x16x32_fp8_fp8 v[76:79], a[76:77], a[12:13], v[76:79]// 000000003DE0: D3F3004C 1D32194C
	v_mfma_f32_16x16x32_fp8_fp8 v[76:79], a[78:79], a[14:15], v[76:79]// 000000003DE8: D3F3004C 1D321D4E
	buffer_load_dwordx4 a[176:179], v41, s[24:27], 0 offen     // 000000003DF0: E05C1000 8086B029
	buffer_load_dwordx4 a[180:183], v41, s[24:27], 0 offen offset:1024// 000000003DF8: E05C1400 8086B429
	buffer_load_dwordx4 a[184:187], v42, s[24:27], 0 offen     // 000000003E00: E05C1000 8086B82A
	buffer_load_dwordx4 a[188:191], v42, s[24:27], 0 offen offset:1024// 000000003E08: E05C1400 8086BC2A
	buffer_load_dwordx4 a[192:195], v43, s[24:27], 0 offen     // 000000003E10: E05C1000 8086C02B
	buffer_load_dwordx4 a[196:199], v43, s[24:27], 0 offen offset:1024// 000000003E18: E05C1400 8086C42B
	buffer_load_dwordx4 a[200:203], v44, s[24:27], 0 offen     // 000000003E20: E05C1000 8086C82C
	buffer_load_dwordx4 a[204:207], v44, s[24:27], 0 offen offset:1024// 000000003E28: E05C1400 8086CC2C
	buffer_load_dword v35, s[20:23], 0 offen lds               // 000000003E30: E0511000 80050023
	s_add_u32 m0, 0x100, s50                                   // 000000003E38: 807C32FF 00000100
	buffer_load_dword v36, s[20:23], 0 offen lds               // 000000003E40: E0511000 80050024
	s_add_u32 m0, 0, s48                                       // 000000003E48: 807C3080
	s_waitcnt vmcnt(18)                                        // 000000003E4C: BF8C4F72
	s_barrier                                                  // 000000003E50: BF8A0000
	v_mfma_f32_16x16x32_fp8_fp8 v[80:83], a[80:81], a[8:9], v[80:83]// 000000003E54: D3F30050 1D421150
	v_mfma_f32_16x16x32_fp8_fp8 v[80:83], a[82:83], a[10:11], v[80:83]// 000000003E5C: D3F30050 1D421552
	buffer_load_dwordx4 a[16:19], v37, s[84:87], 0 offen       // 000000003E64: E05C1000 80951025
	v_mfma_f32_16x16x32_fp8_fp8 v[80:83], a[84:85], a[12:13], v[80:83]// 000000003E6C: D3F30050 1D421954
	v_mfma_f32_16x16x32_fp8_fp8 v[80:83], a[86:87], a[14:15], v[80:83]// 000000003E74: D3F30050 1D421D56
	ds_read_b128 a[0:3], v2 offset:2176                        // 000000003E7C: DBFE0880 00000002
	ds_read_b128 a[4:7], v2 offset:2240                        // 000000003E84: DBFE08C0 04000002
	v_mfma_f32_16x16x32_fp8_fp8 v[84:87], a[88:89], a[8:9], v[84:87]// 000000003E8C: D3F30054 1D521158
	v_mfma_f32_16x16x32_fp8_fp8 v[84:87], a[90:91], a[10:11], v[84:87]// 000000003E94: D3F30054 1D52155A
	buffer_load_dwordx4 a[20:23], v37, s[84:87], 0 offen offset:1024// 000000003E9C: E05C1400 80951425
	v_mfma_f32_16x16x32_fp8_fp8 v[84:87], a[92:93], a[12:13], v[84:87]// 000000003EA4: D3F30054 1D52195C
	v_mfma_f32_16x16x32_fp8_fp8 v[84:87], a[94:95], a[14:15], v[84:87]// 000000003EAC: D3F30054 1D521D5E
	v_mfma_f32_16x16x32_fp8_fp8 v[88:91], a[96:97], a[8:9], v[88:91]// 000000003EB4: D3F30058 1D621160
	v_mfma_f32_16x16x32_fp8_fp8 v[88:91], a[98:99], a[10:11], v[88:91]// 000000003EBC: D3F30058 1D621562
	buffer_load_dwordx4 a[24:27], v38, s[84:87], 0 offen       // 000000003EC4: E05C1000 80951826
	v_mfma_f32_16x16x32_fp8_fp8 v[88:91], a[100:101], a[12:13], v[88:91]// 000000003ECC: D3F30058 1D621964
	v_mfma_f32_16x16x32_fp8_fp8 v[88:91], a[102:103], a[14:15], v[88:91]// 000000003ED4: D3F30058 1D621D66
	v_mfma_f32_16x16x32_fp8_fp8 v[92:95], a[104:105], a[8:9], v[92:95]// 000000003EDC: D3F3005C 1D721168
	v_mfma_f32_16x16x32_fp8_fp8 v[92:95], a[106:107], a[10:11], v[92:95]// 000000003EE4: D3F3005C 1D72156A
	buffer_load_dwordx4 a[28:31], v38, s[84:87], 0 offen offset:1024// 000000003EEC: E05C1400 80951C26
	v_mfma_f32_16x16x32_fp8_fp8 v[92:95], a[108:109], a[12:13], v[92:95]// 000000003EF4: D3F3005C 1D72196C
	v_mfma_f32_16x16x32_fp8_fp8 v[92:95], a[110:111], a[14:15], v[92:95]// 000000003EFC: D3F3005C 1D721D6E
	v_mfma_f32_16x16x32_fp8_fp8 v[96:99], a[112:113], a[8:9], v[96:99]// 000000003F04: D3F30060 1D821170
	v_mfma_f32_16x16x32_fp8_fp8 v[96:99], a[114:115], a[10:11], v[96:99]// 000000003F0C: D3F30060 1D821572
	buffer_load_dwordx4 a[32:35], v39, s[84:87], 0 offen       // 000000003F14: E05C1000 80952027
	v_mfma_f32_16x16x32_fp8_fp8 v[96:99], a[116:117], a[12:13], v[96:99]// 000000003F1C: D3F30060 1D821974
	v_mfma_f32_16x16x32_fp8_fp8 v[96:99], a[118:119], a[14:15], v[96:99]// 000000003F24: D3F30060 1D821D76
	v_mfma_f32_16x16x32_fp8_fp8 v[100:103], a[120:121], a[8:9], v[100:103]// 000000003F2C: D3F30064 1D921178
	v_mfma_f32_16x16x32_fp8_fp8 v[100:103], a[122:123], a[10:11], v[100:103]// 000000003F34: D3F30064 1D92157A
	buffer_load_dwordx4 a[36:39], v39, s[84:87], 0 offen offset:1024// 000000003F3C: E05C1400 80952427
	v_mfma_f32_16x16x32_fp8_fp8 v[100:103], a[124:125], a[12:13], v[100:103]// 000000003F44: D3F30064 1D92197C
	v_mfma_f32_16x16x32_fp8_fp8 v[100:103], a[126:127], a[14:15], v[100:103]// 000000003F4C: D3F30064 1D921D7E
	v_mfma_f32_16x16x32_fp8_fp8 v[104:107], a[128:129], a[8:9], v[104:107]// 000000003F54: D3F30068 1DA21180
	s_add_u32 s60, 0x180, s80                                  // 000000003F5C: 803C50FF 00000180
	s_cmp_lt_u32 s60, s81                                      // 000000003F64: BF0A513C
	s_cselect_b32 s57, s57, 0                                  // 000000003F68: 85398039
	v_mfma_f32_16x16x32_fp8_fp8 v[104:107], a[130:131], a[10:11], v[104:107]// 000000003F6C: D3F30068 1DA21582
	buffer_load_dwordx4 a[40:43], v40, s[84:87], 0 offen       // 000000003F74: E05C1000 80952828
	s_add_u32 s60, 0x100, s80                                  // 000000003F7C: 803C50FF 00000100
	s_cmp_lt_u32 s60, s81                                      // 000000003F84: BF0A513C
	s_cselect_b32 s58, s58, 0                                  // 000000003F88: 853A803A
	v_mfma_f32_16x16x32_fp8_fp8 v[104:107], a[132:133], a[12:13], v[104:107]// 000000003F8C: D3F30068 1DA21984
	s_add_u32 s60, 0x100, s80                                  // 000000003F94: 803C50FF 00000100
	s_cmp_lt_u32 s60, s81                                      // 000000003F9C: BF0A513C
	s_cselect_b32 s83, s83, 0                                  // 000000003FA0: 85538053
	v_mfma_f32_16x16x32_fp8_fp8 v[104:107], a[134:135], a[14:15], v[104:107]// 000000003FA4: D3F30068 1DA21D86
	s_add_u32 s24, s58, s24                                    // 000000003FAC: 8018183A
	s_addc_u32 s25, 0, s25                                     // 000000003FB0: 82191980
	v_mfma_f32_16x16x32_fp8_fp8 v[108:111], a[136:137], a[8:9], v[108:111]// 000000003FB4: D3F3006C 1DB21188
	s_add_u32 s20, s57, s20                                    // 000000003FBC: 80141439
	s_addc_u32 s21, 0, s21                                     // 000000003FC0: 82151580
	v_mfma_f32_16x16x32_fp8_fp8 v[108:111], a[138:139], a[10:11], v[108:111]// 000000003FC4: D3F3006C 1DB2158A
	buffer_load_dwordx4 a[44:47], v40, s[84:87], 0 offen offset:1024// 000000003FCC: E05C1400 80952C28
	v_mfma_f32_16x16x32_fp8_fp8 v[108:111], a[140:141], a[12:13], v[108:111]// 000000003FD4: D3F3006C 1DB2198C
	v_mfma_f32_16x16x32_fp8_fp8 v[108:111], a[142:143], a[14:15], v[108:111]// 000000003FDC: D3F3006C 1DB21D8E
	buffer_load_dwordx4 a[48:51], v41, s[84:87], 0 offen       // 000000003FE4: E05C1000 80953029
	buffer_load_dwordx4 a[52:55], v41, s[84:87], 0 offen offset:1024// 000000003FEC: E05C1400 80953429
	buffer_load_dwordx4 a[56:59], v42, s[84:87], 0 offen       // 000000003FF4: E05C1000 8095382A
	buffer_load_dwordx4 a[60:63], v42, s[84:87], 0 offen offset:1024// 000000003FFC: E05C1400 80953C2A
	buffer_load_dwordx4 a[64:67], v43, s[84:87], 0 offen       // 000000004004: E05C1000 8095402B
	buffer_load_dwordx4 a[68:71], v43, s[84:87], 0 offen offset:1024// 00000000400C: E05C1400 8095442B
	buffer_load_dwordx4 a[72:75], v44, s[84:87], 0 offen       // 000000004014: E05C1000 8095482C
	buffer_load_dwordx4 a[76:79], v44, s[84:87], 0 offen offset:1024// 00000000401C: E05C1400 80954C2C
	s_add_u32 s84, s83, s84                                    // 000000004024: 80545453
	s_addc_u32 s85, 0, s85                                     // 000000004028: 82555580
	s_addk_i32 s80, 0x80                                       // 00000000402C: B7500080
	s_cmp_lt_i32 s80, s81                                      // 000000004030: BF045150
	s_cbranch_scc0 label_0755                                  // 000000004034: BF8401C7
	s_waitcnt vmcnt(18) lgkmcnt(0)                             // 000000004038: BF8C4072
	v_mfma_f32_16x16x32_fp8_fp8 v[48:51], a[144:145], a[0:1], v[48:51]// 00000000403C: D3F30030 1CC20190
	v_mfma_f32_16x16x32_fp8_fp8 v[48:51], a[146:147], a[2:3], v[48:51]// 000000004044: D3F30030 1CC20592
	buffer_load_dwordx4 a[80:83], v37, s[24:27], 0 offen       // 00000000404C: E05C1000 80865025
	v_mfma_f32_16x16x32_fp8_fp8 v[48:51], a[148:149], a[4:5], v[48:51]// 000000004054: D3F30030 1CC20994
	v_mfma_f32_16x16x32_fp8_fp8 v[48:51], a[150:151], a[6:7], v[48:51]// 00000000405C: D3F30030 1CC20D96
	v_mfma_f32_16x16x32_fp8_fp8 v[52:55], a[152:153], a[0:1], v[52:55]// 000000004064: D3F30034 1CD20198
	v_mfma_f32_16x16x32_fp8_fp8 v[52:55], a[154:155], a[2:3], v[52:55]// 00000000406C: D3F30034 1CD2059A
	buffer_load_dwordx4 a[84:87], v37, s[24:27], 0 offen offset:1024// 000000004074: E05C1400 80865425
	v_mfma_f32_16x16x32_fp8_fp8 v[52:55], a[156:157], a[4:5], v[52:55]// 00000000407C: D3F30034 1CD2099C
	v_mfma_f32_16x16x32_fp8_fp8 v[52:55], a[158:159], a[6:7], v[52:55]// 000000004084: D3F30034 1CD20D9E
	v_mfma_f32_16x16x32_fp8_fp8 v[56:59], a[160:161], a[0:1], v[56:59]// 00000000408C: D3F30038 1CE201A0
	v_mfma_f32_16x16x32_fp8_fp8 v[56:59], a[162:163], a[2:3], v[56:59]// 000000004094: D3F30038 1CE205A2
	buffer_load_dwordx4 a[88:91], v38, s[24:27], 0 offen       // 00000000409C: E05C1000 80865826
	v_mfma_f32_16x16x32_fp8_fp8 v[56:59], a[164:165], a[4:5], v[56:59]// 0000000040A4: D3F30038 1CE209A4
	v_mfma_f32_16x16x32_fp8_fp8 v[56:59], a[166:167], a[6:7], v[56:59]// 0000000040AC: D3F30038 1CE20DA6
	v_mfma_f32_16x16x32_fp8_fp8 v[60:63], a[168:169], a[0:1], v[60:63]// 0000000040B4: D3F3003C 1CF201A8
	v_mfma_f32_16x16x32_fp8_fp8 v[60:63], a[170:171], a[2:3], v[60:63]// 0000000040BC: D3F3003C 1CF205AA
	buffer_load_dwordx4 a[92:95], v38, s[24:27], 0 offen offset:1024// 0000000040C4: E05C1400 80865C26
	v_mfma_f32_16x16x32_fp8_fp8 v[60:63], a[172:173], a[4:5], v[60:63]// 0000000040CC: D3F3003C 1CF209AC
	v_mfma_f32_16x16x32_fp8_fp8 v[60:63], a[174:175], a[6:7], v[60:63]// 0000000040D4: D3F3003C 1CF20DAE
	v_mfma_f32_16x16x32_fp8_fp8 v[64:67], a[176:177], a[0:1], v[64:67]// 0000000040DC: D3F30040 1D0201B0
	v_mfma_f32_16x16x32_fp8_fp8 v[64:67], a[178:179], a[2:3], v[64:67]// 0000000040E4: D3F30040 1D0205B2
	buffer_load_dwordx4 a[96:99], v39, s[24:27], 0 offen       // 0000000040EC: E05C1000 80866027
	v_mfma_f32_16x16x32_fp8_fp8 v[64:67], a[180:181], a[4:5], v[64:67]// 0000000040F4: D3F30040 1D0209B4
	v_mfma_f32_16x16x32_fp8_fp8 v[64:67], a[182:183], a[6:7], v[64:67]// 0000000040FC: D3F30040 1D020DB6
	v_mfma_f32_16x16x32_fp8_fp8 v[68:71], a[184:185], a[0:1], v[68:71]// 000000004104: D3F30044 1D1201B8
	v_mfma_f32_16x16x32_fp8_fp8 v[68:71], a[186:187], a[2:3], v[68:71]// 00000000410C: D3F30044 1D1205BA
	buffer_load_dwordx4 a[100:103], v39, s[24:27], 0 offen offset:1024// 000000004114: E05C1400 80866427
	v_mfma_f32_16x16x32_fp8_fp8 v[68:71], a[188:189], a[4:5], v[68:71]// 00000000411C: D3F30044 1D1209BC
	v_mfma_f32_16x16x32_fp8_fp8 v[68:71], a[190:191], a[6:7], v[68:71]// 000000004124: D3F30044 1D120DBE
	v_mfma_f32_16x16x32_fp8_fp8 v[72:75], a[192:193], a[0:1], v[72:75]// 00000000412C: D3F30048 1D2201C0
	v_mfma_f32_16x16x32_fp8_fp8 v[72:75], a[194:195], a[2:3], v[72:75]// 000000004134: D3F30048 1D2205C2
	buffer_load_dwordx4 a[104:107], v40, s[24:27], 0 offen     // 00000000413C: E05C1000 80866828
	v_mfma_f32_16x16x32_fp8_fp8 v[72:75], a[196:197], a[4:5], v[72:75]// 000000004144: D3F30048 1D2209C4
	v_mfma_f32_16x16x32_fp8_fp8 v[72:75], a[198:199], a[6:7], v[72:75]// 00000000414C: D3F30048 1D220DC6
	v_mfma_f32_16x16x32_fp8_fp8 v[76:79], a[200:201], a[0:1], v[76:79]// 000000004154: D3F3004C 1D3201C8
	v_mfma_f32_16x16x32_fp8_fp8 v[76:79], a[202:203], a[2:3], v[76:79]// 00000000415C: D3F3004C 1D3205CA
	buffer_load_dwordx4 a[108:111], v40, s[24:27], 0 offen offset:1024// 000000004164: E05C1400 80866C28
	v_mfma_f32_16x16x32_fp8_fp8 v[76:79], a[204:205], a[4:5], v[76:79]// 00000000416C: D3F3004C 1D3209CC
	v_mfma_f32_16x16x32_fp8_fp8 v[76:79], a[206:207], a[6:7], v[76:79]// 000000004174: D3F3004C 1D320DCE
	buffer_load_dwordx4 a[112:115], v41, s[24:27], 0 offen     // 00000000417C: E05C1000 80867029
	buffer_load_dwordx4 a[116:119], v41, s[24:27], 0 offen offset:1024// 000000004184: E05C1400 80867429
	buffer_load_dwordx4 a[120:123], v42, s[24:27], 0 offen     // 00000000418C: E05C1000 8086782A
	buffer_load_dwordx4 a[124:127], v42, s[24:27], 0 offen offset:1024// 000000004194: E05C1400 80867C2A
	buffer_load_dwordx4 a[128:131], v43, s[24:27], 0 offen     // 00000000419C: E05C1000 8086802B
	buffer_load_dwordx4 a[132:135], v43, s[24:27], 0 offen offset:1024// 0000000041A4: E05C1400 8086842B
	buffer_load_dwordx4 a[136:139], v44, s[24:27], 0 offen     // 0000000041AC: E05C1000 8086882C
	buffer_load_dwordx4 a[140:143], v44, s[24:27], 0 offen offset:1024// 0000000041B4: E05C1400 80868C2C
	buffer_load_dword v35, s[20:23], 0 offen lds               // 0000000041BC: E0511000 80050023
	s_add_u32 m0, 0x100, s48                                   // 0000000041C4: 807C30FF 00000100
	buffer_load_dword v36, s[20:23], 0 offen lds               // 0000000041CC: E0511000 80050024
	s_add_u32 m0, 0, s49                                       // 0000000041D4: 807C3180
	s_waitcnt vmcnt(18)                                        // 0000000041D8: BF8C4F72
	s_barrier                                                  // 0000000041DC: BF8A0000
	v_mfma_f32_16x16x32_fp8_fp8 v[80:83], a[16:17], a[0:1], v[80:83]// 0000000041E0: D3F30050 1D420110
	v_mfma_f32_16x16x32_fp8_fp8 v[80:83], a[18:19], a[2:3], v[80:83]// 0000000041E8: D3F30050 1D420512
	buffer_load_dwordx4 a[144:147], v37, s[84:87], 0 offen     // 0000000041F0: E05C1000 80959025
	v_mfma_f32_16x16x32_fp8_fp8 v[80:83], a[20:21], a[4:5], v[80:83]// 0000000041F8: D3F30050 1D420914
	v_mfma_f32_16x16x32_fp8_fp8 v[80:83], a[22:23], a[6:7], v[80:83]// 000000004200: D3F30050 1D420D16
	ds_read_b128 a[8:11], v2 offset:4352                       // 000000004208: DBFE1100 08000002
	ds_read_b128 a[12:15], v2 offset:4416                      // 000000004210: DBFE1140 0C000002
	v_mfma_f32_16x16x32_fp8_fp8 v[84:87], a[24:25], a[0:1], v[84:87]// 000000004218: D3F30054 1D520118
	v_mfma_f32_16x16x32_fp8_fp8 v[84:87], a[26:27], a[2:3], v[84:87]// 000000004220: D3F30054 1D52051A
	buffer_load_dwordx4 a[148:151], v37, s[84:87], 0 offen offset:1024// 000000004228: E05C1400 80959425
	v_mfma_f32_16x16x32_fp8_fp8 v[84:87], a[28:29], a[4:5], v[84:87]// 000000004230: D3F30054 1D52091C
	v_mfma_f32_16x16x32_fp8_fp8 v[84:87], a[30:31], a[6:7], v[84:87]// 000000004238: D3F30054 1D520D1E
	v_mfma_f32_16x16x32_fp8_fp8 v[88:91], a[32:33], a[0:1], v[88:91]// 000000004240: D3F30058 1D620120
	v_mfma_f32_16x16x32_fp8_fp8 v[88:91], a[34:35], a[2:3], v[88:91]// 000000004248: D3F30058 1D620522
	buffer_load_dwordx4 a[152:155], v38, s[84:87], 0 offen     // 000000004250: E05C1000 80959826
	v_mfma_f32_16x16x32_fp8_fp8 v[88:91], a[36:37], a[4:5], v[88:91]// 000000004258: D3F30058 1D620924
	v_mfma_f32_16x16x32_fp8_fp8 v[88:91], a[38:39], a[6:7], v[88:91]// 000000004260: D3F30058 1D620D26
	v_mfma_f32_16x16x32_fp8_fp8 v[92:95], a[40:41], a[0:1], v[92:95]// 000000004268: D3F3005C 1D720128
	v_mfma_f32_16x16x32_fp8_fp8 v[92:95], a[42:43], a[2:3], v[92:95]// 000000004270: D3F3005C 1D72052A
	buffer_load_dwordx4 a[156:159], v38, s[84:87], 0 offen offset:1024// 000000004278: E05C1400 80959C26
	v_mfma_f32_16x16x32_fp8_fp8 v[92:95], a[44:45], a[4:5], v[92:95]// 000000004280: D3F3005C 1D72092C
	v_mfma_f32_16x16x32_fp8_fp8 v[92:95], a[46:47], a[6:7], v[92:95]// 000000004288: D3F3005C 1D720D2E
	v_mfma_f32_16x16x32_fp8_fp8 v[96:99], a[48:49], a[0:1], v[96:99]// 000000004290: D3F30060 1D820130
	v_mfma_f32_16x16x32_fp8_fp8 v[96:99], a[50:51], a[2:3], v[96:99]// 000000004298: D3F30060 1D820532
	buffer_load_dwordx4 a[160:163], v39, s[84:87], 0 offen     // 0000000042A0: E05C1000 8095A027
	v_mfma_f32_16x16x32_fp8_fp8 v[96:99], a[52:53], a[4:5], v[96:99]// 0000000042A8: D3F30060 1D820934
	v_mfma_f32_16x16x32_fp8_fp8 v[96:99], a[54:55], a[6:7], v[96:99]// 0000000042B0: D3F30060 1D820D36
	v_mfma_f32_16x16x32_fp8_fp8 v[100:103], a[56:57], a[0:1], v[100:103]// 0000000042B8: D3F30064 1D920138
	v_mfma_f32_16x16x32_fp8_fp8 v[100:103], a[58:59], a[2:3], v[100:103]// 0000000042C0: D3F30064 1D92053A
	buffer_load_dwordx4 a[164:167], v39, s[84:87], 0 offen offset:1024// 0000000042C8: E05C1400 8095A427
	v_mfma_f32_16x16x32_fp8_fp8 v[100:103], a[60:61], a[4:5], v[100:103]// 0000000042D0: D3F30064 1D92093C
	v_mfma_f32_16x16x32_fp8_fp8 v[100:103], a[62:63], a[6:7], v[100:103]// 0000000042D8: D3F30064 1D920D3E
	v_mfma_f32_16x16x32_fp8_fp8 v[104:107], a[64:65], a[0:1], v[104:107]// 0000000042E0: D3F30068 1DA20140
	s_add_u32 s60, 0x180, s80                                  // 0000000042E8: 803C50FF 00000180
	s_cmp_lt_u32 s60, s81                                      // 0000000042F0: BF0A513C
	s_cselect_b32 s57, s57, 0                                  // 0000000042F4: 85398039
	v_mfma_f32_16x16x32_fp8_fp8 v[104:107], a[66:67], a[2:3], v[104:107]// 0000000042F8: D3F30068 1DA20542
	buffer_load_dwordx4 a[168:171], v40, s[84:87], 0 offen     // 000000004300: E05C1000 8095A828
	s_add_u32 s60, 0x100, s80                                  // 000000004308: 803C50FF 00000100
	s_cmp_lt_u32 s60, s81                                      // 000000004310: BF0A513C
	s_cselect_b32 s58, s58, 0                                  // 000000004314: 853A803A
	v_mfma_f32_16x16x32_fp8_fp8 v[104:107], a[68:69], a[4:5], v[104:107]// 000000004318: D3F30068 1DA20944
	s_add_u32 s60, 0x100, s80                                  // 000000004320: 803C50FF 00000100
	s_cmp_lt_u32 s60, s81                                      // 000000004328: BF0A513C
	s_cselect_b32 s83, s83, 0                                  // 00000000432C: 85538053
	v_mfma_f32_16x16x32_fp8_fp8 v[104:107], a[70:71], a[6:7], v[104:107]// 000000004330: D3F30068 1DA20D46
	s_add_u32 s24, s58, s24                                    // 000000004338: 8018183A
	s_addc_u32 s25, 0, s25                                     // 00000000433C: 82191980
	v_mfma_f32_16x16x32_fp8_fp8 v[108:111], a[72:73], a[0:1], v[108:111]// 000000004340: D3F3006C 1DB20148
	s_add_u32 s20, s57, s20                                    // 000000004348: 80141439
	s_addc_u32 s21, 0, s21                                     // 00000000434C: 82151580
	v_mfma_f32_16x16x32_fp8_fp8 v[108:111], a[74:75], a[2:3], v[108:111]// 000000004350: D3F3006C 1DB2054A
	buffer_load_dwordx4 a[172:175], v40, s[84:87], 0 offen offset:1024// 000000004358: E05C1400 8095AC28
	v_mfma_f32_16x16x32_fp8_fp8 v[108:111], a[76:77], a[4:5], v[108:111]// 000000004360: D3F3006C 1DB2094C
	v_mfma_f32_16x16x32_fp8_fp8 v[108:111], a[78:79], a[6:7], v[108:111]// 000000004368: D3F3006C 1DB20D4E
	buffer_load_dwordx4 a[176:179], v41, s[84:87], 0 offen     // 000000004370: E05C1000 8095B029
	buffer_load_dwordx4 a[180:183], v41, s[84:87], 0 offen offset:1024// 000000004378: E05C1400 8095B429
	buffer_load_dwordx4 a[184:187], v42, s[84:87], 0 offen     // 000000004380: E05C1000 8095B82A
	buffer_load_dwordx4 a[188:191], v42, s[84:87], 0 offen offset:1024// 000000004388: E05C1400 8095BC2A
	buffer_load_dwordx4 a[192:195], v43, s[84:87], 0 offen     // 000000004390: E05C1000 8095C02B
	buffer_load_dwordx4 a[196:199], v43, s[84:87], 0 offen offset:1024// 000000004398: E05C1400 8095C42B
	buffer_load_dwordx4 a[200:203], v44, s[84:87], 0 offen     // 0000000043A0: E05C1000 8095C82C
	buffer_load_dwordx4 a[204:207], v44, s[84:87], 0 offen offset:1024// 0000000043A8: E05C1400 8095CC2C
	s_add_u32 s84, s83, s84                                    // 0000000043B0: 80545453
	s_addc_u32 s85, 0, s85                                     // 0000000043B4: 82555580
	s_addk_i32 s80, 0x80                                       // 0000000043B8: B7500080
	s_cmp_lt_i32 s80, s81                                      // 0000000043BC: BF045150
	s_cbranch_scc0 label_0755                                  // 0000000043C0: BF8400E4
	s_waitcnt vmcnt(18) lgkmcnt(0)                             // 0000000043C4: BF8C4072
	v_mfma_f32_16x16x32_fp8_fp8 v[48:51], a[80:81], a[8:9], v[48:51]// 0000000043C8: D3F30030 1CC21150
	v_mfma_f32_16x16x32_fp8_fp8 v[48:51], a[82:83], a[10:11], v[48:51]// 0000000043D0: D3F30030 1CC21552
	buffer_load_dwordx4 a[16:19], v37, s[24:27], 0 offen       // 0000000043D8: E05C1000 80861025
	v_mfma_f32_16x16x32_fp8_fp8 v[48:51], a[84:85], a[12:13], v[48:51]// 0000000043E0: D3F30030 1CC21954
	v_mfma_f32_16x16x32_fp8_fp8 v[48:51], a[86:87], a[14:15], v[48:51]// 0000000043E8: D3F30030 1CC21D56
	v_mfma_f32_16x16x32_fp8_fp8 v[52:55], a[88:89], a[8:9], v[52:55]// 0000000043F0: D3F30034 1CD21158
	v_mfma_f32_16x16x32_fp8_fp8 v[52:55], a[90:91], a[10:11], v[52:55]// 0000000043F8: D3F30034 1CD2155A
	buffer_load_dwordx4 a[20:23], v37, s[24:27], 0 offen offset:1024// 000000004400: E05C1400 80861425
	v_mfma_f32_16x16x32_fp8_fp8 v[52:55], a[92:93], a[12:13], v[52:55]// 000000004408: D3F30034 1CD2195C
	v_mfma_f32_16x16x32_fp8_fp8 v[52:55], a[94:95], a[14:15], v[52:55]// 000000004410: D3F30034 1CD21D5E
	v_mfma_f32_16x16x32_fp8_fp8 v[56:59], a[96:97], a[8:9], v[56:59]// 000000004418: D3F30038 1CE21160
	v_mfma_f32_16x16x32_fp8_fp8 v[56:59], a[98:99], a[10:11], v[56:59]// 000000004420: D3F30038 1CE21562
	buffer_load_dwordx4 a[24:27], v38, s[24:27], 0 offen       // 000000004428: E05C1000 80861826
	v_mfma_f32_16x16x32_fp8_fp8 v[56:59], a[100:101], a[12:13], v[56:59]// 000000004430: D3F30038 1CE21964
	v_mfma_f32_16x16x32_fp8_fp8 v[56:59], a[102:103], a[14:15], v[56:59]// 000000004438: D3F30038 1CE21D66
	v_mfma_f32_16x16x32_fp8_fp8 v[60:63], a[104:105], a[8:9], v[60:63]// 000000004440: D3F3003C 1CF21168
	v_mfma_f32_16x16x32_fp8_fp8 v[60:63], a[106:107], a[10:11], v[60:63]// 000000004448: D3F3003C 1CF2156A
	buffer_load_dwordx4 a[28:31], v38, s[24:27], 0 offen offset:1024// 000000004450: E05C1400 80861C26
	v_mfma_f32_16x16x32_fp8_fp8 v[60:63], a[108:109], a[12:13], v[60:63]// 000000004458: D3F3003C 1CF2196C
	v_mfma_f32_16x16x32_fp8_fp8 v[60:63], a[110:111], a[14:15], v[60:63]// 000000004460: D3F3003C 1CF21D6E
	v_mfma_f32_16x16x32_fp8_fp8 v[64:67], a[112:113], a[8:9], v[64:67]// 000000004468: D3F30040 1D021170
	v_mfma_f32_16x16x32_fp8_fp8 v[64:67], a[114:115], a[10:11], v[64:67]// 000000004470: D3F30040 1D021572
	buffer_load_dwordx4 a[32:35], v39, s[24:27], 0 offen       // 000000004478: E05C1000 80862027
	v_mfma_f32_16x16x32_fp8_fp8 v[64:67], a[116:117], a[12:13], v[64:67]// 000000004480: D3F30040 1D021974
	v_mfma_f32_16x16x32_fp8_fp8 v[64:67], a[118:119], a[14:15], v[64:67]// 000000004488: D3F30040 1D021D76
	v_mfma_f32_16x16x32_fp8_fp8 v[68:71], a[120:121], a[8:9], v[68:71]// 000000004490: D3F30044 1D121178
	v_mfma_f32_16x16x32_fp8_fp8 v[68:71], a[122:123], a[10:11], v[68:71]// 000000004498: D3F30044 1D12157A
	buffer_load_dwordx4 a[36:39], v39, s[24:27], 0 offen offset:1024// 0000000044A0: E05C1400 80862427
	v_mfma_f32_16x16x32_fp8_fp8 v[68:71], a[124:125], a[12:13], v[68:71]// 0000000044A8: D3F30044 1D12197C
	v_mfma_f32_16x16x32_fp8_fp8 v[68:71], a[126:127], a[14:15], v[68:71]// 0000000044B0: D3F30044 1D121D7E
	v_mfma_f32_16x16x32_fp8_fp8 v[72:75], a[128:129], a[8:9], v[72:75]// 0000000044B8: D3F30048 1D221180
	v_mfma_f32_16x16x32_fp8_fp8 v[72:75], a[130:131], a[10:11], v[72:75]// 0000000044C0: D3F30048 1D221582
	buffer_load_dwordx4 a[40:43], v40, s[24:27], 0 offen       // 0000000044C8: E05C1000 80862828
	v_mfma_f32_16x16x32_fp8_fp8 v[72:75], a[132:133], a[12:13], v[72:75]// 0000000044D0: D3F30048 1D221984
	v_mfma_f32_16x16x32_fp8_fp8 v[72:75], a[134:135], a[14:15], v[72:75]// 0000000044D8: D3F30048 1D221D86
	v_mfma_f32_16x16x32_fp8_fp8 v[76:79], a[136:137], a[8:9], v[76:79]// 0000000044E0: D3F3004C 1D321188
	v_mfma_f32_16x16x32_fp8_fp8 v[76:79], a[138:139], a[10:11], v[76:79]// 0000000044E8: D3F3004C 1D32158A
	buffer_load_dwordx4 a[44:47], v40, s[24:27], 0 offen offset:1024// 0000000044F0: E05C1400 80862C28
	v_mfma_f32_16x16x32_fp8_fp8 v[76:79], a[140:141], a[12:13], v[76:79]// 0000000044F8: D3F3004C 1D32198C
	v_mfma_f32_16x16x32_fp8_fp8 v[76:79], a[142:143], a[14:15], v[76:79]// 000000004500: D3F3004C 1D321D8E
	buffer_load_dwordx4 a[48:51], v41, s[24:27], 0 offen       // 000000004508: E05C1000 80863029
	buffer_load_dwordx4 a[52:55], v41, s[24:27], 0 offen offset:1024// 000000004510: E05C1400 80863429
	buffer_load_dwordx4 a[56:59], v42, s[24:27], 0 offen       // 000000004518: E05C1000 8086382A
	buffer_load_dwordx4 a[60:63], v42, s[24:27], 0 offen offset:1024// 000000004520: E05C1400 80863C2A
	buffer_load_dwordx4 a[64:67], v43, s[24:27], 0 offen       // 000000004528: E05C1000 8086402B
	buffer_load_dwordx4 a[68:71], v43, s[24:27], 0 offen offset:1024// 000000004530: E05C1400 8086442B
	buffer_load_dwordx4 a[72:75], v44, s[24:27], 0 offen       // 000000004538: E05C1000 8086482C
	buffer_load_dwordx4 a[76:79], v44, s[24:27], 0 offen offset:1024// 000000004540: E05C1400 80864C2C
	buffer_load_dword v35, s[20:23], 0 offen lds               // 000000004548: E0511000 80050023
	s_add_u32 m0, 0x100, s49                                   // 000000004550: 807C31FF 00000100
	buffer_load_dword v36, s[20:23], 0 offen lds               // 000000004558: E0511000 80050024
	s_add_u32 m0, 0, s50                                       // 000000004560: 807C3280
	s_waitcnt vmcnt(18)                                        // 000000004564: BF8C4F72
	s_barrier                                                  // 000000004568: BF8A0000
	v_mfma_f32_16x16x32_fp8_fp8 v[80:83], a[144:145], a[8:9], v[80:83]// 00000000456C: D3F30050 1D421190
	v_mfma_f32_16x16x32_fp8_fp8 v[80:83], a[146:147], a[10:11], v[80:83]// 000000004574: D3F30050 1D421592
	buffer_load_dwordx4 a[80:83], v37, s[84:87], 0 offen       // 00000000457C: E05C1000 80955025
	v_mfma_f32_16x16x32_fp8_fp8 v[80:83], a[148:149], a[12:13], v[80:83]// 000000004584: D3F30050 1D421994
	v_mfma_f32_16x16x32_fp8_fp8 v[80:83], a[150:151], a[14:15], v[80:83]// 00000000458C: D3F30050 1D421D96
	ds_read_b128 a[0:3], v2                                    // 000000004594: DBFE0000 00000002
	ds_read_b128 a[4:7], v2 offset:64                          // 00000000459C: DBFE0040 04000002
	v_mfma_f32_16x16x32_fp8_fp8 v[84:87], a[152:153], a[8:9], v[84:87]// 0000000045A4: D3F30054 1D521198
	v_mfma_f32_16x16x32_fp8_fp8 v[84:87], a[154:155], a[10:11], v[84:87]// 0000000045AC: D3F30054 1D52159A
	buffer_load_dwordx4 a[84:87], v37, s[84:87], 0 offen offset:1024// 0000000045B4: E05C1400 80955425
	v_mfma_f32_16x16x32_fp8_fp8 v[84:87], a[156:157], a[12:13], v[84:87]// 0000000045BC: D3F30054 1D52199C
	v_mfma_f32_16x16x32_fp8_fp8 v[84:87], a[158:159], a[14:15], v[84:87]// 0000000045C4: D3F30054 1D521D9E
	v_mfma_f32_16x16x32_fp8_fp8 v[88:91], a[160:161], a[8:9], v[88:91]// 0000000045CC: D3F30058 1D6211A0
	v_mfma_f32_16x16x32_fp8_fp8 v[88:91], a[162:163], a[10:11], v[88:91]// 0000000045D4: D3F30058 1D6215A2
	buffer_load_dwordx4 a[88:91], v38, s[84:87], 0 offen       // 0000000045DC: E05C1000 80955826
	v_mfma_f32_16x16x32_fp8_fp8 v[88:91], a[164:165], a[12:13], v[88:91]// 0000000045E4: D3F30058 1D6219A4
	v_mfma_f32_16x16x32_fp8_fp8 v[88:91], a[166:167], a[14:15], v[88:91]// 0000000045EC: D3F30058 1D621DA6
	v_mfma_f32_16x16x32_fp8_fp8 v[92:95], a[168:169], a[8:9], v[92:95]// 0000000045F4: D3F3005C 1D7211A8
	v_mfma_f32_16x16x32_fp8_fp8 v[92:95], a[170:171], a[10:11], v[92:95]// 0000000045FC: D3F3005C 1D7215AA
	buffer_load_dwordx4 a[92:95], v38, s[84:87], 0 offen offset:1024// 000000004604: E05C1400 80955C26
	v_mfma_f32_16x16x32_fp8_fp8 v[92:95], a[172:173], a[12:13], v[92:95]// 00000000460C: D3F3005C 1D7219AC
	v_mfma_f32_16x16x32_fp8_fp8 v[92:95], a[174:175], a[14:15], v[92:95]// 000000004614: D3F3005C 1D721DAE
	v_mfma_f32_16x16x32_fp8_fp8 v[96:99], a[176:177], a[8:9], v[96:99]// 00000000461C: D3F30060 1D8211B0
	v_mfma_f32_16x16x32_fp8_fp8 v[96:99], a[178:179], a[10:11], v[96:99]// 000000004624: D3F30060 1D8215B2
	buffer_load_dwordx4 a[96:99], v39, s[84:87], 0 offen       // 00000000462C: E05C1000 80956027
	v_mfma_f32_16x16x32_fp8_fp8 v[96:99], a[180:181], a[12:13], v[96:99]// 000000004634: D3F30060 1D8219B4
	v_mfma_f32_16x16x32_fp8_fp8 v[96:99], a[182:183], a[14:15], v[96:99]// 00000000463C: D3F30060 1D821DB6
	v_mfma_f32_16x16x32_fp8_fp8 v[100:103], a[184:185], a[8:9], v[100:103]// 000000004644: D3F30064 1D9211B8
	v_mfma_f32_16x16x32_fp8_fp8 v[100:103], a[186:187], a[10:11], v[100:103]// 00000000464C: D3F30064 1D9215BA
	buffer_load_dwordx4 a[100:103], v39, s[84:87], 0 offen offset:1024// 000000004654: E05C1400 80956427
	v_mfma_f32_16x16x32_fp8_fp8 v[100:103], a[188:189], a[12:13], v[100:103]// 00000000465C: D3F30064 1D9219BC
	v_mfma_f32_16x16x32_fp8_fp8 v[100:103], a[190:191], a[14:15], v[100:103]// 000000004664: D3F30064 1D921DBE
	v_mfma_f32_16x16x32_fp8_fp8 v[104:107], a[192:193], a[8:9], v[104:107]// 00000000466C: D3F30068 1DA211C0
	s_add_u32 s60, 0x180, s80                                  // 000000004674: 803C50FF 00000180
	s_cmp_lt_u32 s60, s81                                      // 00000000467C: BF0A513C
	s_cselect_b32 s57, s57, 0                                  // 000000004680: 85398039
	v_mfma_f32_16x16x32_fp8_fp8 v[104:107], a[194:195], a[10:11], v[104:107]// 000000004684: D3F30068 1DA215C2
	buffer_load_dwordx4 a[104:107], v40, s[84:87], 0 offen     // 00000000468C: E05C1000 80956828
	s_add_u32 s60, 0x100, s80                                  // 000000004694: 803C50FF 00000100
	s_cmp_lt_u32 s60, s81                                      // 00000000469C: BF0A513C
	s_cselect_b32 s58, s58, 0                                  // 0000000046A0: 853A803A
	v_mfma_f32_16x16x32_fp8_fp8 v[104:107], a[196:197], a[12:13], v[104:107]// 0000000046A4: D3F30068 1DA219C4
	s_add_u32 s60, 0x100, s80                                  // 0000000046AC: 803C50FF 00000100
	s_cmp_lt_u32 s60, s81                                      // 0000000046B4: BF0A513C
	s_cselect_b32 s83, s83, 0                                  // 0000000046B8: 85538053
	v_mfma_f32_16x16x32_fp8_fp8 v[104:107], a[198:199], a[14:15], v[104:107]// 0000000046BC: D3F30068 1DA21DC6
	s_add_u32 s24, s58, s24                                    // 0000000046C4: 8018183A
	s_addc_u32 s25, 0, s25                                     // 0000000046C8: 82191980
	v_mfma_f32_16x16x32_fp8_fp8 v[108:111], a[200:201], a[8:9], v[108:111]// 0000000046CC: D3F3006C 1DB211C8
	s_add_u32 s20, s57, s20                                    // 0000000046D4: 80141439
	s_addc_u32 s21, 0, s21                                     // 0000000046D8: 82151580
	v_mfma_f32_16x16x32_fp8_fp8 v[108:111], a[202:203], a[10:11], v[108:111]// 0000000046DC: D3F3006C 1DB215CA
	buffer_load_dwordx4 a[108:111], v40, s[84:87], 0 offen offset:1024// 0000000046E4: E05C1400 80956C28
	v_mfma_f32_16x16x32_fp8_fp8 v[108:111], a[204:205], a[12:13], v[108:111]// 0000000046EC: D3F3006C 1DB219CC
	v_mfma_f32_16x16x32_fp8_fp8 v[108:111], a[206:207], a[14:15], v[108:111]// 0000000046F4: D3F3006C 1DB21DCE
	buffer_load_dwordx4 a[112:115], v41, s[84:87], 0 offen     // 0000000046FC: E05C1000 80957029
	buffer_load_dwordx4 a[116:119], v41, s[84:87], 0 offen offset:1024// 000000004704: E05C1400 80957429
	buffer_load_dwordx4 a[120:123], v42, s[84:87], 0 offen     // 00000000470C: E05C1000 8095782A
	buffer_load_dwordx4 a[124:127], v42, s[84:87], 0 offen offset:1024// 000000004714: E05C1400 80957C2A
	buffer_load_dwordx4 a[128:131], v43, s[84:87], 0 offen     // 00000000471C: E05C1000 8095802B
	buffer_load_dwordx4 a[132:135], v43, s[84:87], 0 offen offset:1024// 000000004724: E05C1400 8095842B
	buffer_load_dwordx4 a[136:139], v44, s[84:87], 0 offen     // 00000000472C: E05C1000 8095882C
	buffer_load_dwordx4 a[140:143], v44, s[84:87], 0 offen offset:1024// 000000004734: E05C1400 80958C2C
	s_add_u32 s84, s83, s84                                    // 00000000473C: 80545453
	s_addc_u32 s85, 0, s85                                     // 000000004740: 82555580
	s_addk_i32 s80, 0x80                                       // 000000004744: B7500080
	s_cmp_lt_i32 s80, s81                                      // 000000004748: BF045150
	s_cbranch_scc0 label_0755                                  // 00000000474C: BF840001
	s_branch label_0202                                        // 000000004750: BF82FAAD

0000000000004754 <label_0755>:
	v_mul_f32_dpp v48, v25, v48 row_newbcast:0 row_mask:0xf bank_mask:0xf// 000000004754: 0A6060FA FF015019
	v_mul_f32_dpp v49, v25, v49 row_newbcast:1 row_mask:0xf bank_mask:0xf// 00000000475C: 0A6262FA FF015119
	v_mul_f32_dpp v50, v25, v50 row_newbcast:2 row_mask:0xf bank_mask:0xf// 000000004764: 0A6464FA FF015219
	v_mul_f32_dpp v51, v25, v51 row_newbcast:3 row_mask:0xf bank_mask:0xf// 00000000476C: 0A6666FA FF015319
	v_mul_f32_dpp v52, v25, v52 row_newbcast:4 row_mask:0xf bank_mask:0xf// 000000004774: 0A6868FA FF015419
	v_mul_f32_dpp v53, v25, v53 row_newbcast:5 row_mask:0xf bank_mask:0xf// 00000000477C: 0A6A6AFA FF015519
	v_mul_f32_dpp v54, v25, v54 row_newbcast:6 row_mask:0xf bank_mask:0xf// 000000004784: 0A6C6CFA FF015619
	v_mul_f32_dpp v55, v25, v55 row_newbcast:7 row_mask:0xf bank_mask:0xf// 00000000478C: 0A6E6EFA FF015719
	v_mul_f32_dpp v56, v25, v56 row_newbcast:8 row_mask:0xf bank_mask:0xf// 000000004794: 0A7070FA FF015819
	v_mul_f32_dpp v57, v25, v57 row_newbcast:9 row_mask:0xf bank_mask:0xf// 00000000479C: 0A7272FA FF015919
	v_mul_f32_dpp v58, v25, v58 row_newbcast:10 row_mask:0xf bank_mask:0xf// 0000000047A4: 0A7474FA FF015A19
	v_mul_f32_dpp v59, v25, v59 row_newbcast:11 row_mask:0xf bank_mask:0xf// 0000000047AC: 0A7676FA FF015B19
	v_mul_f32_dpp v60, v25, v60 row_newbcast:12 row_mask:0xf bank_mask:0xf// 0000000047B4: 0A7878FA FF015C19
	v_mul_f32_dpp v61, v25, v61 row_newbcast:13 row_mask:0xf bank_mask:0xf// 0000000047BC: 0A7A7AFA FF015D19
	v_mul_f32_dpp v62, v25, v62 row_newbcast:14 row_mask:0xf bank_mask:0xf// 0000000047C4: 0A7C7CFA FF015E19
	v_mul_f32_dpp v63, v25, v63 row_newbcast:15 row_mask:0xf bank_mask:0xf// 0000000047CC: 0A7E7EFA FF015F19
	v_mul_f32_dpp v64, v26, v64 row_newbcast:0 row_mask:0xf bank_mask:0xf// 0000000047D4: 0A8080FA FF01501A
	v_mul_f32_dpp v65, v26, v65 row_newbcast:1 row_mask:0xf bank_mask:0xf// 0000000047DC: 0A8282FA FF01511A
	v_mul_f32_dpp v66, v26, v66 row_newbcast:2 row_mask:0xf bank_mask:0xf// 0000000047E4: 0A8484FA FF01521A
	v_mul_f32_dpp v67, v26, v67 row_newbcast:3 row_mask:0xf bank_mask:0xf// 0000000047EC: 0A8686FA FF01531A
	v_mul_f32_dpp v68, v26, v68 row_newbcast:4 row_mask:0xf bank_mask:0xf// 0000000047F4: 0A8888FA FF01541A
	v_mul_f32_dpp v69, v26, v69 row_newbcast:5 row_mask:0xf bank_mask:0xf// 0000000047FC: 0A8A8AFA FF01551A
	v_mul_f32_dpp v70, v26, v70 row_newbcast:6 row_mask:0xf bank_mask:0xf// 000000004804: 0A8C8CFA FF01561A
	v_mul_f32_dpp v71, v26, v71 row_newbcast:7 row_mask:0xf bank_mask:0xf// 00000000480C: 0A8E8EFA FF01571A
	v_mul_f32_dpp v72, v26, v72 row_newbcast:8 row_mask:0xf bank_mask:0xf// 000000004814: 0A9090FA FF01581A
	v_mul_f32_dpp v73, v26, v73 row_newbcast:9 row_mask:0xf bank_mask:0xf// 00000000481C: 0A9292FA FF01591A
	v_mul_f32_dpp v74, v26, v74 row_newbcast:10 row_mask:0xf bank_mask:0xf// 000000004824: 0A9494FA FF015A1A
	v_mul_f32_dpp v75, v26, v75 row_newbcast:11 row_mask:0xf bank_mask:0xf// 00000000482C: 0A9696FA FF015B1A
	v_mul_f32_dpp v76, v26, v76 row_newbcast:12 row_mask:0xf bank_mask:0xf// 000000004834: 0A9898FA FF015C1A
	v_mul_f32_dpp v77, v26, v77 row_newbcast:13 row_mask:0xf bank_mask:0xf// 00000000483C: 0A9A9AFA FF015D1A
	v_mul_f32_dpp v78, v26, v78 row_newbcast:14 row_mask:0xf bank_mask:0xf// 000000004844: 0A9C9CFA FF015E1A
	v_mul_f32_dpp v79, v26, v79 row_newbcast:15 row_mask:0xf bank_mask:0xf// 00000000484C: 0A9E9EFA FF015F1A
	v_mul_f32_dpp v80, v28, v80 row_newbcast:0 row_mask:0xf bank_mask:0xf// 000000004854: 0AA0A0FA FF01501C
	v_mul_f32_dpp v81, v28, v81 row_newbcast:1 row_mask:0xf bank_mask:0xf// 00000000485C: 0AA2A2FA FF01511C
	v_mul_f32_dpp v82, v28, v82 row_newbcast:2 row_mask:0xf bank_mask:0xf// 000000004864: 0AA4A4FA FF01521C
	v_mul_f32_dpp v83, v28, v83 row_newbcast:3 row_mask:0xf bank_mask:0xf// 00000000486C: 0AA6A6FA FF01531C
	v_mul_f32_dpp v84, v28, v84 row_newbcast:4 row_mask:0xf bank_mask:0xf// 000000004874: 0AA8A8FA FF01541C
	v_mul_f32_dpp v85, v28, v85 row_newbcast:5 row_mask:0xf bank_mask:0xf// 00000000487C: 0AAAAAFA FF01551C
	v_mul_f32_dpp v86, v28, v86 row_newbcast:6 row_mask:0xf bank_mask:0xf// 000000004884: 0AACACFA FF01561C
	v_mul_f32_dpp v87, v28, v87 row_newbcast:7 row_mask:0xf bank_mask:0xf// 00000000488C: 0AAEAEFA FF01571C
	v_mul_f32_dpp v88, v28, v88 row_newbcast:8 row_mask:0xf bank_mask:0xf// 000000004894: 0AB0B0FA FF01581C
	v_mul_f32_dpp v89, v28, v89 row_newbcast:9 row_mask:0xf bank_mask:0xf// 00000000489C: 0AB2B2FA FF01591C
	v_mul_f32_dpp v90, v28, v90 row_newbcast:10 row_mask:0xf bank_mask:0xf// 0000000048A4: 0AB4B4FA FF015A1C
	v_mul_f32_dpp v91, v28, v91 row_newbcast:11 row_mask:0xf bank_mask:0xf// 0000000048AC: 0AB6B6FA FF015B1C
	v_mul_f32_dpp v92, v28, v92 row_newbcast:12 row_mask:0xf bank_mask:0xf// 0000000048B4: 0AB8B8FA FF015C1C
	v_mul_f32_dpp v93, v28, v93 row_newbcast:13 row_mask:0xf bank_mask:0xf// 0000000048BC: 0ABABAFA FF015D1C
	v_mul_f32_dpp v94, v28, v94 row_newbcast:14 row_mask:0xf bank_mask:0xf// 0000000048C4: 0ABCBCFA FF015E1C
	v_mul_f32_dpp v95, v28, v95 row_newbcast:15 row_mask:0xf bank_mask:0xf// 0000000048CC: 0ABEBEFA FF015F1C
	v_mul_f32_dpp v96, v29, v96 row_newbcast:0 row_mask:0xf bank_mask:0xf// 0000000048D4: 0AC0C0FA FF01501D
	v_mul_f32_dpp v97, v29, v97 row_newbcast:1 row_mask:0xf bank_mask:0xf// 0000000048DC: 0AC2C2FA FF01511D
	v_mul_f32_dpp v98, v29, v98 row_newbcast:2 row_mask:0xf bank_mask:0xf// 0000000048E4: 0AC4C4FA FF01521D
	v_mul_f32_dpp v99, v29, v99 row_newbcast:3 row_mask:0xf bank_mask:0xf// 0000000048EC: 0AC6C6FA FF01531D
	v_mul_f32_dpp v100, v29, v100 row_newbcast:4 row_mask:0xf bank_mask:0xf// 0000000048F4: 0AC8C8FA FF01541D
	v_mul_f32_dpp v101, v29, v101 row_newbcast:5 row_mask:0xf bank_mask:0xf// 0000000048FC: 0ACACAFA FF01551D
	v_mul_f32_dpp v102, v29, v102 row_newbcast:6 row_mask:0xf bank_mask:0xf// 000000004904: 0ACCCCFA FF01561D
	v_mul_f32_dpp v103, v29, v103 row_newbcast:7 row_mask:0xf bank_mask:0xf// 00000000490C: 0ACECEFA FF01571D
	v_mul_f32_dpp v104, v29, v104 row_newbcast:8 row_mask:0xf bank_mask:0xf// 000000004914: 0AD0D0FA FF01581D
	v_mul_f32_dpp v105, v29, v105 row_newbcast:9 row_mask:0xf bank_mask:0xf// 00000000491C: 0AD2D2FA FF01591D
	v_mul_f32_dpp v106, v29, v106 row_newbcast:10 row_mask:0xf bank_mask:0xf// 000000004924: 0AD4D4FA FF015A1D
	v_mul_f32_dpp v107, v29, v107 row_newbcast:11 row_mask:0xf bank_mask:0xf// 00000000492C: 0AD6D6FA FF015B1D
	v_mul_f32_dpp v108, v29, v108 row_newbcast:12 row_mask:0xf bank_mask:0xf// 000000004934: 0AD8D8FA FF015C1D
	v_mul_f32_dpp v109, v29, v109 row_newbcast:13 row_mask:0xf bank_mask:0xf// 00000000493C: 0ADADAFA FF015D1D
	v_mul_f32_dpp v110, v29, v110 row_newbcast:14 row_mask:0xf bank_mask:0xf// 000000004944: 0ADCDCFA FF015E1D
	v_mul_f32_dpp v111, v29, v111 row_newbcast:15 row_mask:0xf bank_mask:0xf// 00000000494C: 0ADEDEFA FF015F1D
	v_mul_f32_e32 v32, v32, v112                               // 000000004954: 0A40E120
	v_mov_b32_e32 v4, v32                                      // 000000004958: 7E080320
	v_mov_b32_e32 v5, v4                                       // 00000000495C: 7E0A0304
	v_pk_mul_f32 v[48:49], v[4:5], v[48:49]                    // 000000004960: D3B14030 18026104
	v_pk_mul_f32 v[80:81], v[4:5], v[80:81]                    // 000000004968: D3B14050 1802A104
	v_pk_mul_f32 v[50:51], v[4:5], v[50:51]                    // 000000004970: D3B14032 18026504
	v_pk_mul_f32 v[82:83], v[4:5], v[82:83]                    // 000000004978: D3B14052 1802A504
	v_pk_mul_f32 v[52:53], v[4:5], v[52:53]                    // 000000004980: D3B14034 18026904
	v_pk_mul_f32 v[84:85], v[4:5], v[84:85]                    // 000000004988: D3B14054 1802A904
	v_pk_mul_f32 v[54:55], v[4:5], v[54:55]                    // 000000004990: D3B14036 18026D04
	v_pk_mul_f32 v[86:87], v[4:5], v[86:87]                    // 000000004998: D3B14056 1802AD04
	v_pk_mul_f32 v[56:57], v[4:5], v[56:57]                    // 0000000049A0: D3B14038 18027104
	v_pk_mul_f32 v[88:89], v[4:5], v[88:89]                    // 0000000049A8: D3B14058 1802B104
	v_pk_mul_f32 v[58:59], v[4:5], v[58:59]                    // 0000000049B0: D3B1403A 18027504
	v_pk_mul_f32 v[90:91], v[4:5], v[90:91]                    // 0000000049B8: D3B1405A 1802B504
	v_pk_mul_f32 v[60:61], v[4:5], v[60:61]                    // 0000000049C0: D3B1403C 18027904
	v_pk_mul_f32 v[92:93], v[4:5], v[92:93]                    // 0000000049C8: D3B1405C 1802B904
	v_pk_mul_f32 v[62:63], v[4:5], v[62:63]                    // 0000000049D0: D3B1403E 18027D04
	v_pk_mul_f32 v[94:95], v[4:5], v[94:95]                    // 0000000049D8: D3B1405E 1802BD04
	v_pk_mul_f32 v[64:65], v[4:5], v[64:65]                    // 0000000049E0: D3B14040 18028104
	v_pk_mul_f32 v[96:97], v[4:5], v[96:97]                    // 0000000049E8: D3B14060 1802C104
	v_pk_mul_f32 v[66:67], v[4:5], v[66:67]                    // 0000000049F0: D3B14042 18028504
	v_pk_mul_f32 v[98:99], v[4:5], v[98:99]                    // 0000000049F8: D3B14062 1802C504
	v_pk_mul_f32 v[68:69], v[4:5], v[68:69]                    // 000000004A00: D3B14044 18028904
	v_pk_mul_f32 v[100:101], v[4:5], v[100:101]                // 000000004A08: D3B14064 1802C904
	v_pk_mul_f32 v[70:71], v[4:5], v[70:71]                    // 000000004A10: D3B14046 18028D04
	v_pk_mul_f32 v[102:103], v[4:5], v[102:103]                // 000000004A18: D3B14066 1802CD04
	v_pk_mul_f32 v[72:73], v[4:5], v[72:73]                    // 000000004A20: D3B14048 18029104
	v_pk_mul_f32 v[104:105], v[4:5], v[104:105]                // 000000004A28: D3B14068 1802D104
	v_pk_mul_f32 v[74:75], v[4:5], v[74:75]                    // 000000004A30: D3B1404A 18029504
	v_pk_mul_f32 v[106:107], v[4:5], v[106:107]                // 000000004A38: D3B1406A 1802D504
	v_pk_mul_f32 v[76:77], v[4:5], v[76:77]                    // 000000004A40: D3B1404C 18029904
	v_pk_mul_f32 v[108:109], v[4:5], v[108:109]                // 000000004A48: D3B1406C 1802D904
	v_pk_mul_f32 v[78:79], v[4:5], v[78:79]                    // 000000004A50: D3B1404E 18029D04
	v_pk_mul_f32 v[110:111], v[4:5], v[110:111]                // 000000004A58: D3B1406E 1802DD04
	s_cmp_eq_u32 s88, 0                                        // 000000004A60: BF068058
	s_cbranch_scc0 label_0BF7                                  // 000000004A64: BF8403DD
	s_cmp_eq_u32 s89, 0                                        // 000000004A68: BF068059
	s_cbranch_scc1 label_0961                                  // 000000004A6C: BF850145
	v_mov_b32_e32 v8, v1                                       // 000000004A70: 7E100301
	v_mov_b32_e32 v9, v1                                       // 000000004A74: 7E120301
	s_mov_b32 s60, s6                                          // 000000004A78: BEBC0006
	s_mov_b32 s61, s6                                          // 000000004A7C: BEBD0006
	v_pk_mul_f32 v[4:5], v[48:49], v[48:49]                    // 000000004A80: D3B14004 18026130
	v_pk_mul_f32 v[6:7], v[50:51], v[50:51]                    // 000000004A88: D3B14006 18026532
	v_pk_fma_f32 v[4:5], v[4:5], s[78:79], v[8:9]              // 000000004A90: D3B04004 1C209D04
	v_pk_fma_f32 v[6:7], v[6:7], s[78:79], v[8:9]              // 000000004A98: D3B04006 1C209D06
	v_pk_mul_f32 v[4:5], v[4:5], v[48:49]                      // 000000004AA0: D3B14004 18026104
	v_pk_mul_f32 v[6:7], v[6:7], v[50:51]                      // 000000004AA8: D3B14006 18026506
	v_pk_mul_f32 v[4:5], v[4:5], s[60:61]                      // 000000004AB0: D3B14004 18007904
	v_pk_mul_f32 v[6:7], v[6:7], s[60:61]                      // 000000004AB8: D3B14006 18007906
	v_exp_f32_e32 v4, v4                                       // 000000004AC0: 7E084104
	v_exp_f32_e32 v5, v5                                       // 000000004AC4: 7E0A4105
	v_exp_f32_e32 v6, v6                                       // 000000004AC8: 7E0C4106
	v_exp_f32_e32 v7, v7                                       // 000000004ACC: 7E0E4107
	v_add_f32_e64 v4, v4, 1.0                                  // 000000004AD0: D1010004 0001E504
	v_add_f32_e64 v5, v5, 1.0                                  // 000000004AD8: D1010005 0001E505
	v_add_f32_e64 v6, v6, 1.0                                  // 000000004AE0: D1010006 0001E506
	v_add_f32_e64 v7, v7, 1.0                                  // 000000004AE8: D1010007 0001E507
	v_rcp_f32_e32 v4, v4                                       // 000000004AF0: 7E084504
	v_rcp_f32_e32 v5, v5                                       // 000000004AF4: 7E0A4505
	v_rcp_f32_e32 v6, v6                                       // 000000004AF8: 7E0C4506
	v_rcp_f32_e32 v7, v7                                       // 000000004AFC: 7E0E4507
	v_mul_f32_e32 v48, v48, v4                                 // 000000004B00: 0A600930
	v_mul_f32_e32 v49, v49, v5                                 // 000000004B04: 0A620B31
	v_mul_f32_e32 v50, v50, v6                                 // 000000004B08: 0A640D32
	v_mul_f32_e32 v51, v51, v7                                 // 000000004B0C: 0A660F33
	v_mul_f32_e32 v48, v48, v80                                // 000000004B10: 0A60A130
	v_mul_f32_e32 v49, v49, v81                                // 000000004B14: 0A62A331
	v_mul_f32_e32 v50, v50, v82                                // 000000004B18: 0A64A532
	v_mul_f32_e32 v51, v51, v83                                // 000000004B1C: 0A66A733
	v_pk_mul_f32 v[4:5], v[52:53], v[52:53]                    // 000000004B20: D3B14004 18026934
	v_pk_mul_f32 v[6:7], v[54:55], v[54:55]                    // 000000004B28: D3B14006 18026D36
	v_pk_fma_f32 v[4:5], v[4:5], s[78:79], v[8:9]              // 000000004B30: D3B04004 1C209D04
	v_pk_fma_f32 v[6:7], v[6:7], s[78:79], v[8:9]              // 000000004B38: D3B04006 1C209D06
	v_pk_mul_f32 v[4:5], v[4:5], v[52:53]                      // 000000004B40: D3B14004 18026904
	v_pk_mul_f32 v[6:7], v[6:7], v[54:55]                      // 000000004B48: D3B14006 18026D06
	v_pk_mul_f32 v[4:5], v[4:5], s[60:61]                      // 000000004B50: D3B14004 18007904
	v_pk_mul_f32 v[6:7], v[6:7], s[60:61]                      // 000000004B58: D3B14006 18007906
	v_exp_f32_e32 v4, v4                                       // 000000004B60: 7E084104
	v_exp_f32_e32 v5, v5                                       // 000000004B64: 7E0A4105
	v_exp_f32_e32 v6, v6                                       // 000000004B68: 7E0C4106
	v_exp_f32_e32 v7, v7                                       // 000000004B6C: 7E0E4107
	v_add_f32_e64 v4, v4, 1.0                                  // 000000004B70: D1010004 0001E504
	v_add_f32_e64 v5, v5, 1.0                                  // 000000004B78: D1010005 0001E505
	v_add_f32_e64 v6, v6, 1.0                                  // 000000004B80: D1010006 0001E506
	v_add_f32_e64 v7, v7, 1.0                                  // 000000004B88: D1010007 0001E507
	v_rcp_f32_e32 v4, v4                                       // 000000004B90: 7E084504
	v_rcp_f32_e32 v5, v5                                       // 000000004B94: 7E0A4505
	v_rcp_f32_e32 v6, v6                                       // 000000004B98: 7E0C4506
	v_rcp_f32_e32 v7, v7                                       // 000000004B9C: 7E0E4507
	v_mul_f32_e32 v52, v52, v4                                 // 000000004BA0: 0A680934
	v_mul_f32_e32 v53, v53, v5                                 // 000000004BA4: 0A6A0B35
	v_mul_f32_e32 v54, v54, v6                                 // 000000004BA8: 0A6C0D36
	v_mul_f32_e32 v55, v55, v7                                 // 000000004BAC: 0A6E0F37
	v_mul_f32_e32 v52, v52, v84                                // 000000004BB0: 0A68A934
	v_mul_f32_e32 v53, v53, v85                                // 000000004BB4: 0A6AAB35
	v_mul_f32_e32 v54, v54, v86                                // 000000004BB8: 0A6CAD36
	v_mul_f32_e32 v55, v55, v87                                // 000000004BBC: 0A6EAF37
	v_pk_mul_f32 v[4:5], v[56:57], v[56:57]                    // 000000004BC0: D3B14004 18027138
	v_pk_mul_f32 v[6:7], v[58:59], v[58:59]                    // 000000004BC8: D3B14006 1802753A
	v_pk_fma_f32 v[4:5], v[4:5], s[78:79], v[8:9]              // 000000004BD0: D3B04004 1C209D04
	v_pk_fma_f32 v[6:7], v[6:7], s[78:79], v[8:9]              // 000000004BD8: D3B04006 1C209D06
	v_pk_mul_f32 v[4:5], v[4:5], v[56:57]                      // 000000004BE0: D3B14004 18027104
	v_pk_mul_f32 v[6:7], v[6:7], v[58:59]                      // 000000004BE8: D3B14006 18027506
	v_pk_mul_f32 v[4:5], v[4:5], s[60:61]                      // 000000004BF0: D3B14004 18007904
	v_pk_mul_f32 v[6:7], v[6:7], s[60:61]                      // 000000004BF8: D3B14006 18007906
	v_exp_f32_e32 v4, v4                                       // 000000004C00: 7E084104
	v_exp_f32_e32 v5, v5                                       // 000000004C04: 7E0A4105
	v_exp_f32_e32 v6, v6                                       // 000000004C08: 7E0C4106
	v_exp_f32_e32 v7, v7                                       // 000000004C0C: 7E0E4107
	v_add_f32_e64 v4, v4, 1.0                                  // 000000004C10: D1010004 0001E504
	v_add_f32_e64 v5, v5, 1.0                                  // 000000004C18: D1010005 0001E505
	v_add_f32_e64 v6, v6, 1.0                                  // 000000004C20: D1010006 0001E506
	v_add_f32_e64 v7, v7, 1.0                                  // 000000004C28: D1010007 0001E507
	v_rcp_f32_e32 v4, v4                                       // 000000004C30: 7E084504
	v_rcp_f32_e32 v5, v5                                       // 000000004C34: 7E0A4505
	v_rcp_f32_e32 v6, v6                                       // 000000004C38: 7E0C4506
	v_rcp_f32_e32 v7, v7                                       // 000000004C3C: 7E0E4507
	v_mul_f32_e32 v56, v56, v4                                 // 000000004C40: 0A700938
	v_mul_f32_e32 v57, v57, v5                                 // 000000004C44: 0A720B39
	v_mul_f32_e32 v58, v58, v6                                 // 000000004C48: 0A740D3A
	v_mul_f32_e32 v59, v59, v7                                 // 000000004C4C: 0A760F3B
	v_mul_f32_e32 v56, v56, v88                                // 000000004C50: 0A70B138
	v_mul_f32_e32 v57, v57, v89                                // 000000004C54: 0A72B339
	v_mul_f32_e32 v58, v58, v90                                // 000000004C58: 0A74B53A
	v_mul_f32_e32 v59, v59, v91                                // 000000004C5C: 0A76B73B
	v_pk_mul_f32 v[4:5], v[60:61], v[60:61]                    // 000000004C60: D3B14004 1802793C
	v_pk_mul_f32 v[6:7], v[62:63], v[62:63]                    // 000000004C68: D3B14006 18027D3E
	v_pk_fma_f32 v[4:5], v[4:5], s[78:79], v[8:9]              // 000000004C70: D3B04004 1C209D04
	v_pk_fma_f32 v[6:7], v[6:7], s[78:79], v[8:9]              // 000000004C78: D3B04006 1C209D06
	v_pk_mul_f32 v[4:5], v[4:5], v[60:61]                      // 000000004C80: D3B14004 18027904
	v_pk_mul_f32 v[6:7], v[6:7], v[62:63]                      // 000000004C88: D3B14006 18027D06
	v_pk_mul_f32 v[4:5], v[4:5], s[60:61]                      // 000000004C90: D3B14004 18007904
	v_pk_mul_f32 v[6:7], v[6:7], s[60:61]                      // 000000004C98: D3B14006 18007906
	v_exp_f32_e32 v4, v4                                       // 000000004CA0: 7E084104
	v_exp_f32_e32 v5, v5                                       // 000000004CA4: 7E0A4105
	v_exp_f32_e32 v6, v6                                       // 000000004CA8: 7E0C4106
	v_exp_f32_e32 v7, v7                                       // 000000004CAC: 7E0E4107
	v_add_f32_e64 v4, v4, 1.0                                  // 000000004CB0: D1010004 0001E504
	v_add_f32_e64 v5, v5, 1.0                                  // 000000004CB8: D1010005 0001E505
	v_add_f32_e64 v6, v6, 1.0                                  // 000000004CC0: D1010006 0001E506
	v_add_f32_e64 v7, v7, 1.0                                  // 000000004CC8: D1010007 0001E507
	v_rcp_f32_e32 v4, v4                                       // 000000004CD0: 7E084504
	v_rcp_f32_e32 v5, v5                                       // 000000004CD4: 7E0A4505
	v_rcp_f32_e32 v6, v6                                       // 000000004CD8: 7E0C4506
	v_rcp_f32_e32 v7, v7                                       // 000000004CDC: 7E0E4507
	v_mul_f32_e32 v60, v60, v4                                 // 000000004CE0: 0A78093C
	v_mul_f32_e32 v61, v61, v5                                 // 000000004CE4: 0A7A0B3D
	v_mul_f32_e32 v62, v62, v6                                 // 000000004CE8: 0A7C0D3E
	v_mul_f32_e32 v63, v63, v7                                 // 000000004CEC: 0A7E0F3F
	v_mul_f32_e32 v60, v60, v92                                // 000000004CF0: 0A78B93C
	v_mul_f32_e32 v61, v61, v93                                // 000000004CF4: 0A7ABB3D
	v_mul_f32_e32 v62, v62, v94                                // 000000004CF8: 0A7CBD3E
	v_mul_f32_e32 v63, v63, v95                                // 000000004CFC: 0A7EBF3F
	v_pk_mul_f32 v[4:5], v[64:65], v[64:65]                    // 000000004D00: D3B14004 18028140
	v_pk_mul_f32 v[6:7], v[66:67], v[66:67]                    // 000000004D08: D3B14006 18028542
	v_pk_fma_f32 v[4:5], v[4:5], s[78:79], v[8:9]              // 000000004D10: D3B04004 1C209D04
	v_pk_fma_f32 v[6:7], v[6:7], s[78:79], v[8:9]              // 000000004D18: D3B04006 1C209D06
	v_pk_mul_f32 v[4:5], v[4:5], v[64:65]                      // 000000004D20: D3B14004 18028104
	v_pk_mul_f32 v[6:7], v[6:7], v[66:67]                      // 000000004D28: D3B14006 18028506
	v_pk_mul_f32 v[4:5], v[4:5], s[60:61]                      // 000000004D30: D3B14004 18007904
	v_pk_mul_f32 v[6:7], v[6:7], s[60:61]                      // 000000004D38: D3B14006 18007906
	v_exp_f32_e32 v4, v4                                       // 000000004D40: 7E084104
	v_exp_f32_e32 v5, v5                                       // 000000004D44: 7E0A4105
	v_exp_f32_e32 v6, v6                                       // 000000004D48: 7E0C4106
	v_exp_f32_e32 v7, v7                                       // 000000004D4C: 7E0E4107
	v_add_f32_e64 v4, v4, 1.0                                  // 000000004D50: D1010004 0001E504
	v_add_f32_e64 v5, v5, 1.0                                  // 000000004D58: D1010005 0001E505
	v_add_f32_e64 v6, v6, 1.0                                  // 000000004D60: D1010006 0001E506
	v_add_f32_e64 v7, v7, 1.0                                  // 000000004D68: D1010007 0001E507
	v_rcp_f32_e32 v4, v4                                       // 000000004D70: 7E084504
	v_rcp_f32_e32 v5, v5                                       // 000000004D74: 7E0A4505
	v_rcp_f32_e32 v6, v6                                       // 000000004D78: 7E0C4506
	v_rcp_f32_e32 v7, v7                                       // 000000004D7C: 7E0E4507
	v_mul_f32_e32 v64, v64, v4                                 // 000000004D80: 0A800940
	v_mul_f32_e32 v65, v65, v5                                 // 000000004D84: 0A820B41
	v_mul_f32_e32 v66, v66, v6                                 // 000000004D88: 0A840D42
	v_mul_f32_e32 v67, v67, v7                                 // 000000004D8C: 0A860F43
	v_mul_f32_e32 v64, v64, v96                                // 000000004D90: 0A80C140
	v_mul_f32_e32 v65, v65, v97                                // 000000004D94: 0A82C341
	v_mul_f32_e32 v66, v66, v98                                // 000000004D98: 0A84C542
	v_mul_f32_e32 v67, v67, v99                                // 000000004D9C: 0A86C743
	v_pk_mul_f32 v[4:5], v[68:69], v[68:69]                    // 000000004DA0: D3B14004 18028944
	v_pk_mul_f32 v[6:7], v[70:71], v[70:71]                    // 000000004DA8: D3B14006 18028D46
	v_pk_fma_f32 v[4:5], v[4:5], s[78:79], v[8:9]              // 000000004DB0: D3B04004 1C209D04
	v_pk_fma_f32 v[6:7], v[6:7], s[78:79], v[8:9]              // 000000004DB8: D3B04006 1C209D06
	v_pk_mul_f32 v[4:5], v[4:5], v[68:69]                      // 000000004DC0: D3B14004 18028904
	v_pk_mul_f32 v[6:7], v[6:7], v[70:71]                      // 000000004DC8: D3B14006 18028D06
	v_pk_mul_f32 v[4:5], v[4:5], s[60:61]                      // 000000004DD0: D3B14004 18007904
	v_pk_mul_f32 v[6:7], v[6:7], s[60:61]                      // 000000004DD8: D3B14006 18007906
	v_exp_f32_e32 v4, v4                                       // 000000004DE0: 7E084104
	v_exp_f32_e32 v5, v5                                       // 000000004DE4: 7E0A4105
	v_exp_f32_e32 v6, v6                                       // 000000004DE8: 7E0C4106
	v_exp_f32_e32 v7, v7                                       // 000000004DEC: 7E0E4107
	v_add_f32_e64 v4, v4, 1.0                                  // 000000004DF0: D1010004 0001E504
	v_add_f32_e64 v5, v5, 1.0                                  // 000000004DF8: D1010005 0001E505
	v_add_f32_e64 v6, v6, 1.0                                  // 000000004E00: D1010006 0001E506
	v_add_f32_e64 v7, v7, 1.0                                  // 000000004E08: D1010007 0001E507
	v_rcp_f32_e32 v4, v4                                       // 000000004E10: 7E084504
	v_rcp_f32_e32 v5, v5                                       // 000000004E14: 7E0A4505
	v_rcp_f32_e32 v6, v6                                       // 000000004E18: 7E0C4506
	v_rcp_f32_e32 v7, v7                                       // 000000004E1C: 7E0E4507
	v_mul_f32_e32 v68, v68, v4                                 // 000000004E20: 0A880944
	v_mul_f32_e32 v69, v69, v5                                 // 000000004E24: 0A8A0B45
	v_mul_f32_e32 v70, v70, v6                                 // 000000004E28: 0A8C0D46
	v_mul_f32_e32 v71, v71, v7                                 // 000000004E2C: 0A8E0F47
	v_mul_f32_e32 v68, v68, v100                               // 000000004E30: 0A88C944
	v_mul_f32_e32 v69, v69, v101                               // 000000004E34: 0A8ACB45
	v_mul_f32_e32 v70, v70, v102                               // 000000004E38: 0A8CCD46
	v_mul_f32_e32 v71, v71, v103                               // 000000004E3C: 0A8ECF47
	v_pk_mul_f32 v[4:5], v[72:73], v[72:73]                    // 000000004E40: D3B14004 18029148
	v_pk_mul_f32 v[6:7], v[74:75], v[74:75]                    // 000000004E48: D3B14006 1802954A
	v_pk_fma_f32 v[4:5], v[4:5], s[78:79], v[8:9]              // 000000004E50: D3B04004 1C209D04
	v_pk_fma_f32 v[6:7], v[6:7], s[78:79], v[8:9]              // 000000004E58: D3B04006 1C209D06
	v_pk_mul_f32 v[4:5], v[4:5], v[72:73]                      // 000000004E60: D3B14004 18029104
	v_pk_mul_f32 v[6:7], v[6:7], v[74:75]                      // 000000004E68: D3B14006 18029506
	v_pk_mul_f32 v[4:5], v[4:5], s[60:61]                      // 000000004E70: D3B14004 18007904
	v_pk_mul_f32 v[6:7], v[6:7], s[60:61]                      // 000000004E78: D3B14006 18007906
	v_exp_f32_e32 v4, v4                                       // 000000004E80: 7E084104
	v_exp_f32_e32 v5, v5                                       // 000000004E84: 7E0A4105
	v_exp_f32_e32 v6, v6                                       // 000000004E88: 7E0C4106
	v_exp_f32_e32 v7, v7                                       // 000000004E8C: 7E0E4107
	v_add_f32_e64 v4, v4, 1.0                                  // 000000004E90: D1010004 0001E504
	v_add_f32_e64 v5, v5, 1.0                                  // 000000004E98: D1010005 0001E505
	v_add_f32_e64 v6, v6, 1.0                                  // 000000004EA0: D1010006 0001E506
	v_add_f32_e64 v7, v7, 1.0                                  // 000000004EA8: D1010007 0001E507
	v_rcp_f32_e32 v4, v4                                       // 000000004EB0: 7E084504
	v_rcp_f32_e32 v5, v5                                       // 000000004EB4: 7E0A4505
	v_rcp_f32_e32 v6, v6                                       // 000000004EB8: 7E0C4506
	v_rcp_f32_e32 v7, v7                                       // 000000004EBC: 7E0E4507
	v_mul_f32_e32 v72, v72, v4                                 // 000000004EC0: 0A900948
	v_mul_f32_e32 v73, v73, v5                                 // 000000004EC4: 0A920B49
	v_mul_f32_e32 v74, v74, v6                                 // 000000004EC8: 0A940D4A
	v_mul_f32_e32 v75, v75, v7                                 // 000000004ECC: 0A960F4B
	v_mul_f32_e32 v72, v72, v104                               // 000000004ED0: 0A90D148
	v_mul_f32_e32 v73, v73, v105                               // 000000004ED4: 0A92D349
	v_mul_f32_e32 v74, v74, v106                               // 000000004ED8: 0A94D54A
	v_mul_f32_e32 v75, v75, v107                               // 000000004EDC: 0A96D74B
	v_pk_mul_f32 v[4:5], v[76:77], v[76:77]                    // 000000004EE0: D3B14004 1802994C
	v_pk_mul_f32 v[6:7], v[78:79], v[78:79]                    // 000000004EE8: D3B14006 18029D4E
	v_pk_fma_f32 v[4:5], v[4:5], s[78:79], v[8:9]              // 000000004EF0: D3B04004 1C209D04
	v_pk_fma_f32 v[6:7], v[6:7], s[78:79], v[8:9]              // 000000004EF8: D3B04006 1C209D06
	v_pk_mul_f32 v[4:5], v[4:5], v[76:77]                      // 000000004F00: D3B14004 18029904
	v_pk_mul_f32 v[6:7], v[6:7], v[78:79]                      // 000000004F08: D3B14006 18029D06
	v_pk_mul_f32 v[4:5], v[4:5], s[60:61]                      // 000000004F10: D3B14004 18007904
	v_pk_mul_f32 v[6:7], v[6:7], s[60:61]                      // 000000004F18: D3B14006 18007906
	v_exp_f32_e32 v4, v4                                       // 000000004F20: 7E084104
	v_exp_f32_e32 v5, v5                                       // 000000004F24: 7E0A4105
	v_exp_f32_e32 v6, v6                                       // 000000004F28: 7E0C4106
	v_exp_f32_e32 v7, v7                                       // 000000004F2C: 7E0E4107
	v_add_f32_e64 v4, v4, 1.0                                  // 000000004F30: D1010004 0001E504
	v_add_f32_e64 v5, v5, 1.0                                  // 000000004F38: D1010005 0001E505
	v_add_f32_e64 v6, v6, 1.0                                  // 000000004F40: D1010006 0001E506
	v_add_f32_e64 v7, v7, 1.0                                  // 000000004F48: D1010007 0001E507
	v_rcp_f32_e32 v4, v4                                       // 000000004F50: 7E084504
	v_rcp_f32_e32 v5, v5                                       // 000000004F54: 7E0A4505
	v_rcp_f32_e32 v6, v6                                       // 000000004F58: 7E0C4506
	v_rcp_f32_e32 v7, v7                                       // 000000004F5C: 7E0E4507
	v_mul_f32_e32 v76, v76, v4                                 // 000000004F60: 0A98094C
	v_mul_f32_e32 v77, v77, v5                                 // 000000004F64: 0A9A0B4D
	v_mul_f32_e32 v78, v78, v6                                 // 000000004F68: 0A9C0D4E
	v_mul_f32_e32 v79, v79, v7                                 // 000000004F6C: 0A9E0F4F
	v_mul_f32_e32 v76, v76, v108                               // 000000004F70: 0A98D94C
	v_mul_f32_e32 v77, v77, v109                               // 000000004F74: 0A9ADB4D
	v_mul_f32_e32 v78, v78, v110                               // 000000004F78: 0A9CDD4E
	v_mul_f32_e32 v79, v79, v111                               // 000000004F7C: 0A9EDF4F
	s_branch label_0A61                                        // 000000004F80: BF820100

0000000000004f84 <label_0961>:
	v_mul_f32_e64 v4, -v48, s6                                 // 000000004F84: D1050004 20000D30
	v_mul_f32_e64 v5, -v49, s6                                 // 000000004F8C: D1050005 20000D31
	v_mul_f32_e64 v6, -v50, s6                                 // 000000004F94: D1050006 20000D32
	v_mul_f32_e64 v7, -v51, s6                                 // 000000004F9C: D1050007 20000D33
	v_exp_f32_e32 v4, v4                                       // 000000004FA4: 7E084104
	v_exp_f32_e32 v5, v5                                       // 000000004FA8: 7E0A4105
	v_exp_f32_e32 v6, v6                                       // 000000004FAC: 7E0C4106
	v_exp_f32_e32 v7, v7                                       // 000000004FB0: 7E0E4107
	v_add_f32_e64 v4, v4, 1.0                                  // 000000004FB4: D1010004 0001E504
	v_add_f32_e64 v5, v5, 1.0                                  // 000000004FBC: D1010005 0001E505
	v_add_f32_e64 v6, v6, 1.0                                  // 000000004FC4: D1010006 0001E506
	v_add_f32_e64 v7, v7, 1.0                                  // 000000004FCC: D1010007 0001E507
	v_rcp_f32_e32 v4, v4                                       // 000000004FD4: 7E084504
	v_rcp_f32_e32 v5, v5                                       // 000000004FD8: 7E0A4505
	v_rcp_f32_e32 v6, v6                                       // 000000004FDC: 7E0C4506
	v_rcp_f32_e32 v7, v7                                       // 000000004FE0: 7E0E4507
	v_mul_f32_e32 v48, v48, v4                                 // 000000004FE4: 0A600930
	v_mul_f32_e32 v49, v49, v5                                 // 000000004FE8: 0A620B31
	v_mul_f32_e32 v50, v50, v6                                 // 000000004FEC: 0A640D32
	v_mul_f32_e32 v51, v51, v7                                 // 000000004FF0: 0A660F33
	v_mul_f32_e32 v48, v48, v80                                // 000000004FF4: 0A60A130
	v_mul_f32_e32 v49, v49, v81                                // 000000004FF8: 0A62A331
	v_mul_f32_e32 v50, v50, v82                                // 000000004FFC: 0A64A532
	v_mul_f32_e32 v51, v51, v83                                // 000000005000: 0A66A733
	v_mul_f32_e64 v4, -v52, s6                                 // 000000005004: D1050004 20000D34
	v_mul_f32_e64 v5, -v53, s6                                 // 00000000500C: D1050005 20000D35
	v_mul_f32_e64 v6, -v54, s6                                 // 000000005014: D1050006 20000D36
	v_mul_f32_e64 v7, -v55, s6                                 // 00000000501C: D1050007 20000D37
	v_exp_f32_e32 v4, v4                                       // 000000005024: 7E084104
	v_exp_f32_e32 v5, v5                                       // 000000005028: 7E0A4105
	v_exp_f32_e32 v6, v6                                       // 00000000502C: 7E0C4106
	v_exp_f32_e32 v7, v7                                       // 000000005030: 7E0E4107
	v_add_f32_e64 v4, v4, 1.0                                  // 000000005034: D1010004 0001E504
	v_add_f32_e64 v5, v5, 1.0                                  // 00000000503C: D1010005 0001E505
	v_add_f32_e64 v6, v6, 1.0                                  // 000000005044: D1010006 0001E506
	v_add_f32_e64 v7, v7, 1.0                                  // 00000000504C: D1010007 0001E507
	v_rcp_f32_e32 v4, v4                                       // 000000005054: 7E084504
	v_rcp_f32_e32 v5, v5                                       // 000000005058: 7E0A4505
	v_rcp_f32_e32 v6, v6                                       // 00000000505C: 7E0C4506
	v_rcp_f32_e32 v7, v7                                       // 000000005060: 7E0E4507
	v_mul_f32_e32 v52, v52, v4                                 // 000000005064: 0A680934
	v_mul_f32_e32 v53, v53, v5                                 // 000000005068: 0A6A0B35
	v_mul_f32_e32 v54, v54, v6                                 // 00000000506C: 0A6C0D36
	v_mul_f32_e32 v55, v55, v7                                 // 000000005070: 0A6E0F37
	v_mul_f32_e32 v52, v52, v84                                // 000000005074: 0A68A934
	v_mul_f32_e32 v53, v53, v85                                // 000000005078: 0A6AAB35
	v_mul_f32_e32 v54, v54, v86                                // 00000000507C: 0A6CAD36
	v_mul_f32_e32 v55, v55, v87                                // 000000005080: 0A6EAF37
	v_mul_f32_e64 v4, -v56, s6                                 // 000000005084: D1050004 20000D38
	v_mul_f32_e64 v5, -v57, s6                                 // 00000000508C: D1050005 20000D39
	v_mul_f32_e64 v6, -v58, s6                                 // 000000005094: D1050006 20000D3A
	v_mul_f32_e64 v7, -v59, s6                                 // 00000000509C: D1050007 20000D3B
	v_exp_f32_e32 v4, v4                                       // 0000000050A4: 7E084104
	v_exp_f32_e32 v5, v5                                       // 0000000050A8: 7E0A4105
	v_exp_f32_e32 v6, v6                                       // 0000000050AC: 7E0C4106
	v_exp_f32_e32 v7, v7                                       // 0000000050B0: 7E0E4107
	v_add_f32_e64 v4, v4, 1.0                                  // 0000000050B4: D1010004 0001E504
	v_add_f32_e64 v5, v5, 1.0                                  // 0000000050BC: D1010005 0001E505
	v_add_f32_e64 v6, v6, 1.0                                  // 0000000050C4: D1010006 0001E506
	v_add_f32_e64 v7, v7, 1.0                                  // 0000000050CC: D1010007 0001E507
	v_rcp_f32_e32 v4, v4                                       // 0000000050D4: 7E084504
	v_rcp_f32_e32 v5, v5                                       // 0000000050D8: 7E0A4505
	v_rcp_f32_e32 v6, v6                                       // 0000000050DC: 7E0C4506
	v_rcp_f32_e32 v7, v7                                       // 0000000050E0: 7E0E4507
	v_mul_f32_e32 v56, v56, v4                                 // 0000000050E4: 0A700938
	v_mul_f32_e32 v57, v57, v5                                 // 0000000050E8: 0A720B39
	v_mul_f32_e32 v58, v58, v6                                 // 0000000050EC: 0A740D3A
	v_mul_f32_e32 v59, v59, v7                                 // 0000000050F0: 0A760F3B
	v_mul_f32_e32 v56, v56, v88                                // 0000000050F4: 0A70B138
	v_mul_f32_e32 v57, v57, v89                                // 0000000050F8: 0A72B339
	v_mul_f32_e32 v58, v58, v90                                // 0000000050FC: 0A74B53A
	v_mul_f32_e32 v59, v59, v91                                // 000000005100: 0A76B73B
	v_mul_f32_e64 v4, -v60, s6                                 // 000000005104: D1050004 20000D3C
	v_mul_f32_e64 v5, -v61, s6                                 // 00000000510C: D1050005 20000D3D
	v_mul_f32_e64 v6, -v62, s6                                 // 000000005114: D1050006 20000D3E
	v_mul_f32_e64 v7, -v63, s6                                 // 00000000511C: D1050007 20000D3F
	v_exp_f32_e32 v4, v4                                       // 000000005124: 7E084104
	v_exp_f32_e32 v5, v5                                       // 000000005128: 7E0A4105
	v_exp_f32_e32 v6, v6                                       // 00000000512C: 7E0C4106
	v_exp_f32_e32 v7, v7                                       // 000000005130: 7E0E4107
	v_add_f32_e64 v4, v4, 1.0                                  // 000000005134: D1010004 0001E504
	v_add_f32_e64 v5, v5, 1.0                                  // 00000000513C: D1010005 0001E505
	v_add_f32_e64 v6, v6, 1.0                                  // 000000005144: D1010006 0001E506
	v_add_f32_e64 v7, v7, 1.0                                  // 00000000514C: D1010007 0001E507
	v_rcp_f32_e32 v4, v4                                       // 000000005154: 7E084504
	v_rcp_f32_e32 v5, v5                                       // 000000005158: 7E0A4505
	v_rcp_f32_e32 v6, v6                                       // 00000000515C: 7E0C4506
	v_rcp_f32_e32 v7, v7                                       // 000000005160: 7E0E4507
	v_mul_f32_e32 v60, v60, v4                                 // 000000005164: 0A78093C
	v_mul_f32_e32 v61, v61, v5                                 // 000000005168: 0A7A0B3D
	v_mul_f32_e32 v62, v62, v6                                 // 00000000516C: 0A7C0D3E
	v_mul_f32_e32 v63, v63, v7                                 // 000000005170: 0A7E0F3F
	v_mul_f32_e32 v60, v60, v92                                // 000000005174: 0A78B93C
	v_mul_f32_e32 v61, v61, v93                                // 000000005178: 0A7ABB3D
	v_mul_f32_e32 v62, v62, v94                                // 00000000517C: 0A7CBD3E
	v_mul_f32_e32 v63, v63, v95                                // 000000005180: 0A7EBF3F
	v_mul_f32_e64 v4, -v64, s6                                 // 000000005184: D1050004 20000D40
	v_mul_f32_e64 v5, -v65, s6                                 // 00000000518C: D1050005 20000D41
	v_mul_f32_e64 v6, -v66, s6                                 // 000000005194: D1050006 20000D42
	v_mul_f32_e64 v7, -v67, s6                                 // 00000000519C: D1050007 20000D43
	v_exp_f32_e32 v4, v4                                       // 0000000051A4: 7E084104
	v_exp_f32_e32 v5, v5                                       // 0000000051A8: 7E0A4105
	v_exp_f32_e32 v6, v6                                       // 0000000051AC: 7E0C4106
	v_exp_f32_e32 v7, v7                                       // 0000000051B0: 7E0E4107
	v_add_f32_e64 v4, v4, 1.0                                  // 0000000051B4: D1010004 0001E504
	v_add_f32_e64 v5, v5, 1.0                                  // 0000000051BC: D1010005 0001E505
	v_add_f32_e64 v6, v6, 1.0                                  // 0000000051C4: D1010006 0001E506
	v_add_f32_e64 v7, v7, 1.0                                  // 0000000051CC: D1010007 0001E507
	v_rcp_f32_e32 v4, v4                                       // 0000000051D4: 7E084504
	v_rcp_f32_e32 v5, v5                                       // 0000000051D8: 7E0A4505
	v_rcp_f32_e32 v6, v6                                       // 0000000051DC: 7E0C4506
	v_rcp_f32_e32 v7, v7                                       // 0000000051E0: 7E0E4507
	v_mul_f32_e32 v64, v64, v4                                 // 0000000051E4: 0A800940
	v_mul_f32_e32 v65, v65, v5                                 // 0000000051E8: 0A820B41
	v_mul_f32_e32 v66, v66, v6                                 // 0000000051EC: 0A840D42
	v_mul_f32_e32 v67, v67, v7                                 // 0000000051F0: 0A860F43
	v_mul_f32_e32 v64, v64, v96                                // 0000000051F4: 0A80C140
	v_mul_f32_e32 v65, v65, v97                                // 0000000051F8: 0A82C341
	v_mul_f32_e32 v66, v66, v98                                // 0000000051FC: 0A84C542
	v_mul_f32_e32 v67, v67, v99                                // 000000005200: 0A86C743
	v_mul_f32_e64 v4, -v68, s6                                 // 000000005204: D1050004 20000D44
	v_mul_f32_e64 v5, -v69, s6                                 // 00000000520C: D1050005 20000D45
	v_mul_f32_e64 v6, -v70, s6                                 // 000000005214: D1050006 20000D46
	v_mul_f32_e64 v7, -v71, s6                                 // 00000000521C: D1050007 20000D47
	v_exp_f32_e32 v4, v4                                       // 000000005224: 7E084104
	v_exp_f32_e32 v5, v5                                       // 000000005228: 7E0A4105
	v_exp_f32_e32 v6, v6                                       // 00000000522C: 7E0C4106
	v_exp_f32_e32 v7, v7                                       // 000000005230: 7E0E4107
	v_add_f32_e64 v4, v4, 1.0                                  // 000000005234: D1010004 0001E504
	v_add_f32_e64 v5, v5, 1.0                                  // 00000000523C: D1010005 0001E505
	v_add_f32_e64 v6, v6, 1.0                                  // 000000005244: D1010006 0001E506
	v_add_f32_e64 v7, v7, 1.0                                  // 00000000524C: D1010007 0001E507
	v_rcp_f32_e32 v4, v4                                       // 000000005254: 7E084504
	v_rcp_f32_e32 v5, v5                                       // 000000005258: 7E0A4505
	v_rcp_f32_e32 v6, v6                                       // 00000000525C: 7E0C4506
	v_rcp_f32_e32 v7, v7                                       // 000000005260: 7E0E4507
	v_mul_f32_e32 v68, v68, v4                                 // 000000005264: 0A880944
	v_mul_f32_e32 v69, v69, v5                                 // 000000005268: 0A8A0B45
	v_mul_f32_e32 v70, v70, v6                                 // 00000000526C: 0A8C0D46
	v_mul_f32_e32 v71, v71, v7                                 // 000000005270: 0A8E0F47
	v_mul_f32_e32 v68, v68, v100                               // 000000005274: 0A88C944
	v_mul_f32_e32 v69, v69, v101                               // 000000005278: 0A8ACB45
	v_mul_f32_e32 v70, v70, v102                               // 00000000527C: 0A8CCD46
	v_mul_f32_e32 v71, v71, v103                               // 000000005280: 0A8ECF47
	v_mul_f32_e64 v4, -v72, s6                                 // 000000005284: D1050004 20000D48
	v_mul_f32_e64 v5, -v73, s6                                 // 00000000528C: D1050005 20000D49
	v_mul_f32_e64 v6, -v74, s6                                 // 000000005294: D1050006 20000D4A
	v_mul_f32_e64 v7, -v75, s6                                 // 00000000529C: D1050007 20000D4B
	v_exp_f32_e32 v4, v4                                       // 0000000052A4: 7E084104
	v_exp_f32_e32 v5, v5                                       // 0000000052A8: 7E0A4105
	v_exp_f32_e32 v6, v6                                       // 0000000052AC: 7E0C4106
	v_exp_f32_e32 v7, v7                                       // 0000000052B0: 7E0E4107
	v_add_f32_e64 v4, v4, 1.0                                  // 0000000052B4: D1010004 0001E504
	v_add_f32_e64 v5, v5, 1.0                                  // 0000000052BC: D1010005 0001E505
	v_add_f32_e64 v6, v6, 1.0                                  // 0000000052C4: D1010006 0001E506
	v_add_f32_e64 v7, v7, 1.0                                  // 0000000052CC: D1010007 0001E507
	v_rcp_f32_e32 v4, v4                                       // 0000000052D4: 7E084504
	v_rcp_f32_e32 v5, v5                                       // 0000000052D8: 7E0A4505
	v_rcp_f32_e32 v6, v6                                       // 0000000052DC: 7E0C4506
	v_rcp_f32_e32 v7, v7                                       // 0000000052E0: 7E0E4507
	v_mul_f32_e32 v72, v72, v4                                 // 0000000052E4: 0A900948
	v_mul_f32_e32 v73, v73, v5                                 // 0000000052E8: 0A920B49
	v_mul_f32_e32 v74, v74, v6                                 // 0000000052EC: 0A940D4A
	v_mul_f32_e32 v75, v75, v7                                 // 0000000052F0: 0A960F4B
	v_mul_f32_e32 v72, v72, v104                               // 0000000052F4: 0A90D148
	v_mul_f32_e32 v73, v73, v105                               // 0000000052F8: 0A92D349
	v_mul_f32_e32 v74, v74, v106                               // 0000000052FC: 0A94D54A
	v_mul_f32_e32 v75, v75, v107                               // 000000005300: 0A96D74B
	v_mul_f32_e64 v4, -v76, s6                                 // 000000005304: D1050004 20000D4C
	v_mul_f32_e64 v5, -v77, s6                                 // 00000000530C: D1050005 20000D4D
	v_mul_f32_e64 v6, -v78, s6                                 // 000000005314: D1050006 20000D4E
	v_mul_f32_e64 v7, -v79, s6                                 // 00000000531C: D1050007 20000D4F
	v_exp_f32_e32 v4, v4                                       // 000000005324: 7E084104
	v_exp_f32_e32 v5, v5                                       // 000000005328: 7E0A4105
	v_exp_f32_e32 v6, v6                                       // 00000000532C: 7E0C4106
	v_exp_f32_e32 v7, v7                                       // 000000005330: 7E0E4107
	v_add_f32_e64 v4, v4, 1.0                                  // 000000005334: D1010004 0001E504
	v_add_f32_e64 v5, v5, 1.0                                  // 00000000533C: D1010005 0001E505
	v_add_f32_e64 v6, v6, 1.0                                  // 000000005344: D1010006 0001E506
	v_add_f32_e64 v7, v7, 1.0                                  // 00000000534C: D1010007 0001E507
	v_rcp_f32_e32 v4, v4                                       // 000000005354: 7E084504
	v_rcp_f32_e32 v5, v5                                       // 000000005358: 7E0A4505
	v_rcp_f32_e32 v6, v6                                       // 00000000535C: 7E0C4506
	v_rcp_f32_e32 v7, v7                                       // 000000005360: 7E0E4507
	v_mul_f32_e32 v76, v76, v4                                 // 000000005364: 0A98094C
	v_mul_f32_e32 v77, v77, v5                                 // 000000005368: 0A9A0B4D
	v_mul_f32_e32 v78, v78, v6                                 // 00000000536C: 0A9C0D4E
	v_mul_f32_e32 v79, v79, v7                                 // 000000005370: 0A9E0F4F
	v_mul_f32_e32 v76, v76, v108                               // 000000005374: 0A98D94C
	v_mul_f32_e32 v77, v77, v109                               // 000000005378: 0A9ADB4D
	v_mul_f32_e32 v78, v78, v110                               // 00000000537C: 0A9CDD4E
	v_mul_f32_e32 v79, v79, v111                               // 000000005380: 0A9EDF4F

0000000000005384 <label_0A61>:
	v_cmp_u_f32_e64 s[46:47], v48, v48                         // 000000005384: D048002E 00026130
	v_add3_u32 v16, v48, v19, 1                                // 00000000538C: D1FF0010 02062730
	v_cndmask_b32_e64 v4, v16, v18, s[46:47]                   // 000000005394: D1000004 00BA2510
	v_cmp_u_f32_e64 s[46:47], v49, v49                         // 00000000539C: D048002E 00026331
	v_add3_u32 v16, v49, v19, 1                                // 0000000053A4: D1FF0010 02062731
	v_cndmask_b32_e64 v5, v16, v18, s[46:47]                   // 0000000053AC: D1000005 00BA2510
	v_perm_b32 v48, v5, v4, s52                                // 0000000053B4: D1ED0030 00D20905
	v_cmp_u_f32_e64 s[46:47], v50, v50                         // 0000000053BC: D048002E 00026532
	v_add3_u32 v16, v50, v19, 1                                // 0000000053C4: D1FF0010 02062732
	v_cndmask_b32_e64 v4, v16, v18, s[46:47]                   // 0000000053CC: D1000004 00BA2510
	v_cmp_u_f32_e64 s[46:47], v51, v51                         // 0000000053D4: D048002E 00026733
	v_add3_u32 v16, v51, v19, 1                                // 0000000053DC: D1FF0010 02062733
	v_cndmask_b32_e64 v5, v16, v18, s[46:47]                   // 0000000053E4: D1000005 00BA2510
	v_perm_b32 v49, v5, v4, s52                                // 0000000053EC: D1ED0031 00D20905
	v_cmp_u_f32_e64 s[46:47], v52, v52                         // 0000000053F4: D048002E 00026934
	v_add3_u32 v16, v52, v19, 1                                // 0000000053FC: D1FF0010 02062734
	v_cndmask_b32_e64 v4, v16, v18, s[46:47]                   // 000000005404: D1000004 00BA2510
	v_cmp_u_f32_e64 s[46:47], v53, v53                         // 00000000540C: D048002E 00026B35
	v_add3_u32 v16, v53, v19, 1                                // 000000005414: D1FF0010 02062735
	v_cndmask_b32_e64 v5, v16, v18, s[46:47]                   // 00000000541C: D1000005 00BA2510
	v_perm_b32 v50, v5, v4, s52                                // 000000005424: D1ED0032 00D20905
	v_cmp_u_f32_e64 s[46:47], v54, v54                         // 00000000542C: D048002E 00026D36
	v_add3_u32 v16, v54, v19, 1                                // 000000005434: D1FF0010 02062736
	v_cndmask_b32_e64 v4, v16, v18, s[46:47]                   // 00000000543C: D1000004 00BA2510
	v_cmp_u_f32_e64 s[46:47], v55, v55                         // 000000005444: D048002E 00026F37
	v_add3_u32 v16, v55, v19, 1                                // 00000000544C: D1FF0010 02062737
	v_cndmask_b32_e64 v5, v16, v18, s[46:47]                   // 000000005454: D1000005 00BA2510
	v_perm_b32 v51, v5, v4, s52                                // 00000000545C: D1ED0033 00D20905
	v_cmp_u_f32_e64 s[46:47], v56, v56                         // 000000005464: D048002E 00027138
	v_add3_u32 v16, v56, v19, 1                                // 00000000546C: D1FF0010 02062738
	v_cndmask_b32_e64 v4, v16, v18, s[46:47]                   // 000000005474: D1000004 00BA2510
	v_cmp_u_f32_e64 s[46:47], v57, v57                         // 00000000547C: D048002E 00027339
	v_add3_u32 v16, v57, v19, 1                                // 000000005484: D1FF0010 02062739
	v_cndmask_b32_e64 v5, v16, v18, s[46:47]                   // 00000000548C: D1000005 00BA2510
	v_perm_b32 v52, v5, v4, s52                                // 000000005494: D1ED0034 00D20905
	v_cmp_u_f32_e64 s[46:47], v58, v58                         // 00000000549C: D048002E 0002753A
	v_add3_u32 v16, v58, v19, 1                                // 0000000054A4: D1FF0010 0206273A
	v_cndmask_b32_e64 v4, v16, v18, s[46:47]                   // 0000000054AC: D1000004 00BA2510
	v_cmp_u_f32_e64 s[46:47], v59, v59                         // 0000000054B4: D048002E 0002773B
	v_add3_u32 v16, v59, v19, 1                                // 0000000054BC: D1FF0010 0206273B
	v_cndmask_b32_e64 v5, v16, v18, s[46:47]                   // 0000000054C4: D1000005 00BA2510
	v_perm_b32 v53, v5, v4, s52                                // 0000000054CC: D1ED0035 00D20905
	v_cmp_u_f32_e64 s[46:47], v60, v60                         // 0000000054D4: D048002E 0002793C
	v_add3_u32 v16, v60, v19, 1                                // 0000000054DC: D1FF0010 0206273C
	v_cndmask_b32_e64 v4, v16, v18, s[46:47]                   // 0000000054E4: D1000004 00BA2510
	v_cmp_u_f32_e64 s[46:47], v61, v61                         // 0000000054EC: D048002E 00027B3D
	v_add3_u32 v16, v61, v19, 1                                // 0000000054F4: D1FF0010 0206273D
	v_cndmask_b32_e64 v5, v16, v18, s[46:47]                   // 0000000054FC: D1000005 00BA2510
	v_perm_b32 v54, v5, v4, s52                                // 000000005504: D1ED0036 00D20905
	v_cmp_u_f32_e64 s[46:47], v62, v62                         // 00000000550C: D048002E 00027D3E
	v_add3_u32 v16, v62, v19, 1                                // 000000005514: D1FF0010 0206273E
	v_cndmask_b32_e64 v4, v16, v18, s[46:47]                   // 00000000551C: D1000004 00BA2510
	v_cmp_u_f32_e64 s[46:47], v63, v63                         // 000000005524: D048002E 00027F3F
	v_add3_u32 v16, v63, v19, 1                                // 00000000552C: D1FF0010 0206273F
	v_cndmask_b32_e64 v5, v16, v18, s[46:47]                   // 000000005534: D1000005 00BA2510
	v_perm_b32 v55, v5, v4, s52                                // 00000000553C: D1ED0037 00D20905
	v_cmp_u_f32_e64 s[46:47], v64, v64                         // 000000005544: D048002E 00028140
	v_add3_u32 v16, v64, v19, 1                                // 00000000554C: D1FF0010 02062740
	v_cndmask_b32_e64 v4, v16, v18, s[46:47]                   // 000000005554: D1000004 00BA2510
	v_cmp_u_f32_e64 s[46:47], v65, v65                         // 00000000555C: D048002E 00028341
	v_add3_u32 v16, v65, v19, 1                                // 000000005564: D1FF0010 02062741
	v_cndmask_b32_e64 v5, v16, v18, s[46:47]                   // 00000000556C: D1000005 00BA2510
	v_perm_b32 v56, v5, v4, s52                                // 000000005574: D1ED0038 00D20905
	v_cmp_u_f32_e64 s[46:47], v66, v66                         // 00000000557C: D048002E 00028542
	v_add3_u32 v16, v66, v19, 1                                // 000000005584: D1FF0010 02062742
	v_cndmask_b32_e64 v4, v16, v18, s[46:47]                   // 00000000558C: D1000004 00BA2510
	v_cmp_u_f32_e64 s[46:47], v67, v67                         // 000000005594: D048002E 00028743
	v_add3_u32 v16, v67, v19, 1                                // 00000000559C: D1FF0010 02062743
	v_cndmask_b32_e64 v5, v16, v18, s[46:47]                   // 0000000055A4: D1000005 00BA2510
	v_perm_b32 v57, v5, v4, s52                                // 0000000055AC: D1ED0039 00D20905
	v_cmp_u_f32_e64 s[46:47], v68, v68                         // 0000000055B4: D048002E 00028944
	v_add3_u32 v16, v68, v19, 1                                // 0000000055BC: D1FF0010 02062744
	v_cndmask_b32_e64 v4, v16, v18, s[46:47]                   // 0000000055C4: D1000004 00BA2510
	v_cmp_u_f32_e64 s[46:47], v69, v69                         // 0000000055CC: D048002E 00028B45
	v_add3_u32 v16, v69, v19, 1                                // 0000000055D4: D1FF0010 02062745
	v_cndmask_b32_e64 v5, v16, v18, s[46:47]                   // 0000000055DC: D1000005 00BA2510
	v_perm_b32 v58, v5, v4, s52                                // 0000000055E4: D1ED003A 00D20905
	v_cmp_u_f32_e64 s[46:47], v70, v70                         // 0000000055EC: D048002E 00028D46
	v_add3_u32 v16, v70, v19, 1                                // 0000000055F4: D1FF0010 02062746
	v_cndmask_b32_e64 v4, v16, v18, s[46:47]                   // 0000000055FC: D1000004 00BA2510
	v_cmp_u_f32_e64 s[46:47], v71, v71                         // 000000005604: D048002E 00028F47
	v_add3_u32 v16, v71, v19, 1                                // 00000000560C: D1FF0010 02062747
	v_cndmask_b32_e64 v5, v16, v18, s[46:47]                   // 000000005614: D1000005 00BA2510
	v_perm_b32 v59, v5, v4, s52                                // 00000000561C: D1ED003B 00D20905
	v_cmp_u_f32_e64 s[46:47], v72, v72                         // 000000005624: D048002E 00029148
	v_add3_u32 v16, v72, v19, 1                                // 00000000562C: D1FF0010 02062748
	v_cndmask_b32_e64 v4, v16, v18, s[46:47]                   // 000000005634: D1000004 00BA2510
	v_cmp_u_f32_e64 s[46:47], v73, v73                         // 00000000563C: D048002E 00029349
	v_add3_u32 v16, v73, v19, 1                                // 000000005644: D1FF0010 02062749
	v_cndmask_b32_e64 v5, v16, v18, s[46:47]                   // 00000000564C: D1000005 00BA2510
	v_perm_b32 v60, v5, v4, s52                                // 000000005654: D1ED003C 00D20905
	v_cmp_u_f32_e64 s[46:47], v74, v74                         // 00000000565C: D048002E 0002954A
	v_add3_u32 v16, v74, v19, 1                                // 000000005664: D1FF0010 0206274A
	v_cndmask_b32_e64 v4, v16, v18, s[46:47]                   // 00000000566C: D1000004 00BA2510
	v_cmp_u_f32_e64 s[46:47], v75, v75                         // 000000005674: D048002E 0002974B
	v_add3_u32 v16, v75, v19, 1                                // 00000000567C: D1FF0010 0206274B
	v_cndmask_b32_e64 v5, v16, v18, s[46:47]                   // 000000005684: D1000005 00BA2510
	v_perm_b32 v61, v5, v4, s52                                // 00000000568C: D1ED003D 00D20905
	v_cmp_u_f32_e64 s[46:47], v76, v76                         // 000000005694: D048002E 0002994C
	v_add3_u32 v16, v76, v19, 1                                // 00000000569C: D1FF0010 0206274C
	v_cndmask_b32_e64 v4, v16, v18, s[46:47]                   // 0000000056A4: D1000004 00BA2510
	v_cmp_u_f32_e64 s[46:47], v77, v77                         // 0000000056AC: D048002E 00029B4D
	v_add3_u32 v16, v77, v19, 1                                // 0000000056B4: D1FF0010 0206274D
	v_cndmask_b32_e64 v5, v16, v18, s[46:47]                   // 0000000056BC: D1000005 00BA2510
	v_perm_b32 v62, v5, v4, s52                                // 0000000056C4: D1ED003E 00D20905
	v_cmp_u_f32_e64 s[46:47], v78, v78                         // 0000000056CC: D048002E 00029D4E
	v_add3_u32 v16, v78, v19, 1                                // 0000000056D4: D1FF0010 0206274E
	v_cndmask_b32_e64 v4, v16, v18, s[46:47]                   // 0000000056DC: D1000004 00BA2510
	v_cmp_u_f32_e64 s[46:47], v79, v79                         // 0000000056E4: D048002E 00029F4F
	v_add3_u32 v16, v79, v19, 1                                // 0000000056EC: D1FF0010 0206274F
	v_cndmask_b32_e64 v5, v16, v18, s[46:47]                   // 0000000056F4: D1000005 00BA2510
	v_perm_b32 v63, v5, v4, s52                                // 0000000056FC: D1ED003F 00D20905
	ds_write_b64 v20, v[48:49]                                 // 000000005704: D89A0000 00003014
	ds_write_b64 v20, v[50:51] offset:2176                     // 00000000570C: D89A0880 00003214
	ds_write_b64 v20, v[52:53] offset:4352                     // 000000005714: D89A1100 00003414
	ds_write_b64 v20, v[54:55] offset:6528                     // 00000000571C: D89A1980 00003614
	ds_write_b64 v20, v[56:57] offset:8704                     // 000000005724: D89A2200 00003814
	ds_write_b64 v20, v[58:59] offset:10880                    // 00000000572C: D89A2A80 00003A14
	ds_write_b64 v20, v[60:61] offset:13056                    // 000000005734: D89A3300 00003C14
	ds_write_b64 v20, v[62:63] offset:15232                    // 00000000573C: D89A3B80 00003E14
	v_lshrrev_b32_e32 v4, 5, v0                                // 000000005744: 20080085
	v_xor_b32_e32 v5, 1, v4                                    // 000000005748: 2A0A0881
	s_mul_i32 s60, s65, 2                                      // 00000000574C: 923C8241
	s_cmp_eq_u32 s88, 0                                        // 000000005750: BF068058
	s_cselect_b32 s61, 1, 4                                    // 000000005754: 853D8481
	s_mul_i32 s60, s61, s60                                    // 000000005758: 923C3C3D
	v_readlane_b32 s82, v3, 0                                  // 00000000575C: D2890052 00010103
	s_lshr_b32 s61, s82, 24                                    // 000000005764: 8F3D9852
	s_and_b32 s82, s82, 0xffffff                               // 000000005768: 8652FF52 00FFFFFF
	s_mul_i32 s82, s82, s71                                    // 000000005770: 92524752
	s_mul_i32 s61, s60, s61                                    // 000000005774: 923D3D3C
	s_add_u32 s82, s82, s61                                    // 000000005778: 80523D52
	v_mul_lo_u32 v6, v5, s82                                   // 00000000577C: D2850006 0000A505
	v_readlane_b32 s82, v3, 1                                  // 000000005784: D2890052 00010303
	s_lshr_b32 s61, s82, 24                                    // 00000000578C: 8F3D9852
	s_and_b32 s82, s82, 0xffffff                               // 000000005790: 8652FF52 00FFFFFF
	s_mul_i32 s82, s82, s71                                    // 000000005798: 92524752
	s_mul_i32 s61, s60, s61                                    // 00000000579C: 923D3D3C
	s_add_u32 s82, s82, s61                                    // 0000000057A0: 80523D52
	v_mul_lo_u32 v7, v4, s82                                   // 0000000057A4: D2850007 0000A504
	v_add_u32_e32 v35, v6, v7                                  // 0000000057AC: 68460F06
	v_readlane_b32 s82, v3, 2                                  // 0000000057B0: D2890052 00010503
	s_lshr_b32 s61, s82, 24                                    // 0000000057B8: 8F3D9852
	s_and_b32 s82, s82, 0xffffff                               // 0000000057BC: 8652FF52 00FFFFFF
	s_mul_i32 s82, s82, s71                                    // 0000000057C4: 92524752
	s_mul_i32 s61, s60, s61                                    // 0000000057C8: 923D3D3C
	s_add_u32 s82, s82, s61                                    // 0000000057CC: 80523D52
	v_mul_lo_u32 v6, v5, s82                                   // 0000000057D0: D2850006 0000A505
	v_readlane_b32 s82, v3, 3                                  // 0000000057D8: D2890052 00010703
	s_lshr_b32 s61, s82, 24                                    // 0000000057E0: 8F3D9852
	s_and_b32 s82, s82, 0xffffff                               // 0000000057E4: 8652FF52 00FFFFFF
	s_mul_i32 s82, s82, s71                                    // 0000000057EC: 92524752
	s_mul_i32 s61, s60, s61                                    // 0000000057F0: 923D3D3C
	s_add_u32 s82, s82, s61                                    // 0000000057F4: 80523D52
	v_mul_lo_u32 v7, v4, s82                                   // 0000000057F8: D2850007 0000A504
	v_add_u32_e32 v36, v6, v7                                  // 000000005800: 68480F06
	v_and_b32_e32 v4, 31, v0                                   // 000000005804: 2608009F
	v_lshrrev_b32_e32 v4, 1, v4                                // 000000005808: 20080881
	s_cmp_eq_u32 s88, 0                                        // 00000000580C: BF068058
	s_cselect_b32 s61, 2, 4                                    // 000000005810: 853D8482
	v_mul_lo_u32 v4, v4, s61                                   // 000000005814: D2850004 00007B04
	v_and_b32_e64 v5, v0, 1                                    // 00000000581C: D1130005 00010300
	v_add_u32_e32 v4, v4, v5                                   // 000000005824: 68080B04
	v_lshlrev_b32_e32 v4, 2, v4                                // 000000005828: 24080882
	v_add_u32_e32 v35, v35, v4                                 // 00000000582C: 68460923
	v_add_u32_e32 v36, v36, v4                                 // 000000005830: 68480924
	s_waitcnt lgkmcnt(0)                                       // 000000005834: BF8CC07F
	s_barrier                                                  // 000000005838: BF8A0000
	ds_read_b32 v48, v21                                       // 00000000583C: D86C0000 30000015
	ds_read_b32 v49, v21 offset:64                             // 000000005844: D86C0040 31000015
	ds_read_b32 v50, v21 offset:2176                           // 00000000584C: D86C0880 32000015
	ds_read_b32 v51, v21 offset:2240                           // 000000005854: D86C08C0 33000015
	ds_read_b32 v52, v21 offset:4352                           // 00000000585C: D86C1100 34000015
	ds_read_b32 v53, v21 offset:4416                           // 000000005864: D86C1140 35000015
	ds_read_b32 v54, v21 offset:6528                           // 00000000586C: D86C1980 36000015
	ds_read_b32 v55, v21 offset:6592                           // 000000005874: D86C19C0 37000015
	ds_read_b32 v56, v21 offset:8704                           // 00000000587C: D86C2200 38000015
	ds_read_b32 v57, v21 offset:8768                           // 000000005884: D86C2240 39000015
	ds_read_b32 v58, v21 offset:10880                          // 00000000588C: D86C2A80 3A000015
	ds_read_b32 v59, v21 offset:10944                          // 000000005894: D86C2AC0 3B000015
	ds_read_b32 v60, v21 offset:13056                          // 00000000589C: D86C3300 3C000015
	ds_read_b32 v61, v21 offset:13120                          // 0000000058A4: D86C3340 3D000015
	ds_read_b32 v62, v21 offset:15232                          // 0000000058AC: D86C3B80 3E000015
	ds_read_b32 v63, v21 offset:15296                          // 0000000058B4: D86C3BC0 3F000015
	s_waitcnt lgkmcnt(0)                                       // 0000000058BC: BF8CC07F
	s_mov_b32 s36, -1                                          // 0000000058C0: BEA400C1
	s_mov_b32 s37, -1                                          // 0000000058C4: BEA500C1
	v_mov_b32_e32 v7, 0                                        // 0000000058C8: 7E0E0280
	s_or_b32 s9, s9, 0x40000                                   // 0000000058CC: 8709FF09 00040000
	s_mov_b64 exec, s[36:37]                                   // 0000000058D4: BEFE0124
	v_mov_b32_e32 v6, v35                                      // 0000000058D8: 7E0C0323
	s_mov_b64 s[60:61], 0                                      // 0000000058DC: BEBC0180
	v_readlane_b32 s82, v3, 0                                  // 0000000058E0: D2890052 00010103
	s_and_b32 s82, s82, 0xffffff                               // 0000000058E8: 8652FF52 00FFFFFF
	s_cmp_lt_u32 s82, s66                                      // 0000000058F0: BF0A4252
	s_cselect_b32 s20, s36, s60                                // 0000000058F4: 85143C24
	v_readlane_b32 s82, v3, 1                                  // 0000000058F8: D2890052 00010303
	s_and_b32 s82, s82, 0xffffff                               // 000000005900: 8652FF52 00FFFFFF
	s_cmp_lt_u32 s82, s66                                      // 000000005908: BF0A4252
	s_cselect_b32 s21, s36, s60                                // 00000000590C: 85153C24
	s_mov_b64 exec, s[20:21]                                   // 000000005910: BEFE0114
	buffer_store_dword v48, v6, s[8:11], 0 offen               // 000000005914: E0701000 80023006
	buffer_store_dword v50, v6, s[8:11], 0 offen offset:128    // 00000000591C: E0701080 80023206
	buffer_store_dword v52, v6, s[8:11], 0 offen offset:256    // 000000005924: E0701100 80023406
	buffer_store_dword v54, v6, s[8:11], 0 offen offset:384    // 00000000592C: E0701180 80023606
	buffer_store_dword v56, v6, s[8:11], 0 offen offset:512    // 000000005934: E0701200 80023806
	buffer_store_dword v58, v6, s[8:11], 0 offen offset:640    // 00000000593C: E0701280 80023A06
	buffer_store_dword v60, v6, s[8:11], 0 offen offset:768    // 000000005944: E0701300 80023C06
	buffer_store_dword v62, v6, s[8:11], 0 offen offset:896    // 00000000594C: E0701380 80023E06
	s_mov_b64 exec, s[36:37]                                   // 000000005954: BEFE0124
	v_mov_b32_e32 v6, v36                                      // 000000005958: 7E0C0324
	s_mov_b64 s[60:61], 0                                      // 00000000595C: BEBC0180
	v_readlane_b32 s82, v3, 2                                  // 000000005960: D2890052 00010503
	s_and_b32 s82, s82, 0xffffff                               // 000000005968: 8652FF52 00FFFFFF
	s_cmp_lt_u32 s82, s66                                      // 000000005970: BF0A4252
	s_cselect_b32 s20, s36, s60                                // 000000005974: 85143C24
	v_readlane_b32 s82, v3, 3                                  // 000000005978: D2890052 00010703
	s_and_b32 s82, s82, 0xffffff                               // 000000005980: 8652FF52 00FFFFFF
	s_cmp_lt_u32 s82, s66                                      // 000000005988: BF0A4252
	s_cselect_b32 s21, s36, s60                                // 00000000598C: 85153C24
	s_mov_b64 exec, s[20:21]                                   // 000000005990: BEFE0114
	buffer_store_dword v49, v6, s[8:11], 0 offen               // 000000005994: E0701000 80023106
	buffer_store_dword v51, v6, s[8:11], 0 offen offset:128    // 00000000599C: E0701080 80023306
	buffer_store_dword v53, v6, s[8:11], 0 offen offset:256    // 0000000059A4: E0701100 80023506
	buffer_store_dword v55, v6, s[8:11], 0 offen offset:384    // 0000000059AC: E0701180 80023706
	buffer_store_dword v57, v6, s[8:11], 0 offen offset:512    // 0000000059B4: E0701200 80023906
	buffer_store_dword v59, v6, s[8:11], 0 offen offset:640    // 0000000059BC: E0701280 80023B06
	buffer_store_dword v61, v6, s[8:11], 0 offen offset:768    // 0000000059C4: E0701300 80023D06
	buffer_store_dword v63, v6, s[8:11], 0 offen offset:896    // 0000000059CC: E0701380 80023F06
	s_mov_b64 exec, s[36:37]                                   // 0000000059D4: BEFE0124
	s_branch label_1A1B                                        // 0000000059D8: BF820E21

00000000000059dc <label_0BF7>:
	ds_write_b64 v20, v[48:49]                                 // 0000000059DC: D89A0000 00003014
	ds_write_b64 v20, v[52:53] offset:2176                     // 0000000059E4: D89A0880 00003414
	ds_write_b64 v20, v[56:57] offset:4352                     // 0000000059EC: D89A1100 00003814
	ds_write_b64 v20, v[60:61] offset:6528                     // 0000000059F4: D89A1980 00003C14
	ds_write_b64 v20, v[64:65] offset:8704                     // 0000000059FC: D89A2200 00004014
	ds_write_b64 v20, v[68:69] offset:10880                    // 000000005A04: D89A2A80 00004414
	ds_write_b64 v20, v[72:73] offset:13056                    // 000000005A0C: D89A3300 00004814
	ds_write_b64 v20, v[76:77] offset:15232                    // 000000005A14: D89A3B80 00004C14
	v_lshrrev_b32_e32 v4, 5, v0                                // 000000005A1C: 20080085
	v_xor_b32_e32 v5, 1, v4                                    // 000000005A20: 2A0A0881
	s_mul_i32 s60, s65, 2                                      // 000000005A24: 923C8241
	s_cmp_eq_u32 s88, 0                                        // 000000005A28: BF068058
	s_cselect_b32 s61, 1, 4                                    // 000000005A2C: 853D8481
	s_mul_i32 s60, s61, s60                                    // 000000005A30: 923C3C3D
	v_readlane_b32 s82, v3, 0                                  // 000000005A34: D2890052 00010103
	s_lshr_b32 s61, s82, 24                                    // 000000005A3C: 8F3D9852
	s_and_b32 s82, s82, 0xffffff                               // 000000005A40: 8652FF52 00FFFFFF
	s_mul_i32 s82, s82, s71                                    // 000000005A48: 92524752
	s_mul_i32 s61, s60, s61                                    // 000000005A4C: 923D3D3C
	s_add_u32 s82, s82, s61                                    // 000000005A50: 80523D52
	v_mul_lo_u32 v6, v5, s82                                   // 000000005A54: D2850006 0000A505
	v_readlane_b32 s82, v3, 1                                  // 000000005A5C: D2890052 00010303
	s_lshr_b32 s61, s82, 24                                    // 000000005A64: 8F3D9852
	s_and_b32 s82, s82, 0xffffff                               // 000000005A68: 8652FF52 00FFFFFF
	s_mul_i32 s82, s82, s71                                    // 000000005A70: 92524752
	s_mul_i32 s61, s60, s61                                    // 000000005A74: 923D3D3C
	s_add_u32 s82, s82, s61                                    // 000000005A78: 80523D52
	v_mul_lo_u32 v7, v4, s82                                   // 000000005A7C: D2850007 0000A504
	v_add_u32_e32 v35, v6, v7                                  // 000000005A84: 68460F06
	v_readlane_b32 s82, v3, 2                                  // 000000005A88: D2890052 00010503
	s_lshr_b32 s61, s82, 24                                    // 000000005A90: 8F3D9852
	s_and_b32 s82, s82, 0xffffff                               // 000000005A94: 8652FF52 00FFFFFF
	s_mul_i32 s82, s82, s71                                    // 000000005A9C: 92524752
	s_mul_i32 s61, s60, s61                                    // 000000005AA0: 923D3D3C
	s_add_u32 s82, s82, s61                                    // 000000005AA4: 80523D52
	v_mul_lo_u32 v6, v5, s82                                   // 000000005AA8: D2850006 0000A505
	v_readlane_b32 s82, v3, 3                                  // 000000005AB0: D2890052 00010703
	s_lshr_b32 s61, s82, 24                                    // 000000005AB8: 8F3D9852
	s_and_b32 s82, s82, 0xffffff                               // 000000005ABC: 8652FF52 00FFFFFF
	s_mul_i32 s82, s82, s71                                    // 000000005AC4: 92524752
	s_mul_i32 s61, s60, s61                                    // 000000005AC8: 923D3D3C
	s_add_u32 s82, s82, s61                                    // 000000005ACC: 80523D52
	v_mul_lo_u32 v7, v4, s82                                   // 000000005AD0: D2850007 0000A504
	v_add_u32_e32 v36, v6, v7                                  // 000000005AD8: 68480F06
	v_and_b32_e32 v4, 31, v0                                   // 000000005ADC: 2608009F
	v_lshrrev_b32_e32 v4, 1, v4                                // 000000005AE0: 20080881
	s_cmp_eq_u32 s88, 0                                        // 000000005AE4: BF068058
	s_cselect_b32 s61, 2, 4                                    // 000000005AE8: 853D8482
	v_mul_lo_u32 v4, v4, s61                                   // 000000005AEC: D2850004 00007B04
	v_and_b32_e64 v5, v0, 1                                    // 000000005AF4: D1130005 00010300
	v_add_u32_e32 v4, v4, v5                                   // 000000005AFC: 68080B04
	v_lshlrev_b32_e32 v4, 2, v4                                // 000000005B00: 24080882
	v_add_u32_e32 v35, v35, v4                                 // 000000005B04: 68460923
	v_add_u32_e32 v36, v36, v4                                 // 000000005B08: 68480924
	s_waitcnt lgkmcnt(0)                                       // 000000005B0C: BF8CC07F
	s_barrier                                                  // 000000005B10: BF8A0000
	ds_read_b32 v48, v21                                       // 000000005B14: D86C0000 30000015
	ds_read_b32 v49, v21 offset:64                             // 000000005B1C: D86C0040 31000015
	ds_read_b32 v52, v21 offset:2176                           // 000000005B24: D86C0880 34000015
	ds_read_b32 v53, v21 offset:2240                           // 000000005B2C: D86C08C0 35000015
	ds_read_b32 v56, v21 offset:4352                           // 000000005B34: D86C1100 38000015
	ds_read_b32 v57, v21 offset:4416                           // 000000005B3C: D86C1140 39000015
	ds_read_b32 v60, v21 offset:6528                           // 000000005B44: D86C1980 3C000015
	ds_read_b32 v61, v21 offset:6592                           // 000000005B4C: D86C19C0 3D000015
	ds_read_b32 v64, v21 offset:8704                           // 000000005B54: D86C2200 40000015
	ds_read_b32 v65, v21 offset:8768                           // 000000005B5C: D86C2240 41000015
	ds_read_b32 v68, v21 offset:10880                          // 000000005B64: D86C2A80 44000015
	ds_read_b32 v69, v21 offset:10944                          // 000000005B6C: D86C2AC0 45000015
	ds_read_b32 v72, v21 offset:13056                          // 000000005B74: D86C3300 48000015
	ds_read_b32 v73, v21 offset:13120                          // 000000005B7C: D86C3340 49000015
	ds_read_b32 v76, v21 offset:15232                          // 000000005B84: D86C3B80 4C000015
	ds_read_b32 v77, v21 offset:15296                          // 000000005B8C: D86C3BC0 4D000015
	s_waitcnt lgkmcnt(0)                                       // 000000005B94: BF8CC07F
	s_mov_b32 s36, -1                                          // 000000005B98: BEA400C1
	s_mov_b32 s37, -1                                          // 000000005B9C: BEA500C1
	v_mov_b32_e32 v7, 0                                        // 000000005BA0: 7E0E0280
	s_mov_b64 exec, s[36:37]                                   // 000000005BA4: BEFE0124
	v_mov_b32_e32 v6, v35                                      // 000000005BA8: 7E0C0323
	s_mov_b64 s[60:61], 0                                      // 000000005BAC: BEBC0180
	v_readlane_b32 s82, v3, 0                                  // 000000005BB0: D2890052 00010103
	s_and_b32 s82, s82, 0xffffff                               // 000000005BB8: 8652FF52 00FFFFFF
	s_cmp_lt_u32 s82, s66                                      // 000000005BC0: BF0A4252
	s_cselect_b32 s20, s36, s60                                // 000000005BC4: 85143C24
	v_readlane_b32 s82, v3, 1                                  // 000000005BC8: D2890052 00010303
	s_and_b32 s82, s82, 0xffffff                               // 000000005BD0: 8652FF52 00FFFFFF
	s_cmp_lt_u32 s82, s66                                      // 000000005BD8: BF0A4252
	s_cselect_b32 s21, s36, s60                                // 000000005BDC: 85153C24
	s_mov_b64 exec, s[20:21]                                   // 000000005BE0: BEFE0114
	global_atomic_add_f32 v6, v48, s[8:9]                      // 000000005BE4: DD348000 00083006
	global_atomic_add_f32 v6, v52, s[8:9] offset:256           // 000000005BEC: DD348100 00083406
	global_atomic_add_f32 v6, v56, s[8:9] offset:512           // 000000005BF4: DD348200 00083806
	global_atomic_add_f32 v6, v60, s[8:9] offset:768           // 000000005BFC: DD348300 00083C06
	global_atomic_add_f32 v6, v64, s[8:9] offset:1024          // 000000005C04: DD348400 00084006
	global_atomic_add_f32 v6, v68, s[8:9] offset:1280          // 000000005C0C: DD348500 00084406
	global_atomic_add_f32 v6, v72, s[8:9] offset:1536          // 000000005C14: DD348600 00084806
	global_atomic_add_f32 v6, v76, s[8:9] offset:1792          // 000000005C1C: DD348700 00084C06
	s_mov_b64 exec, s[36:37]                                   // 000000005C24: BEFE0124
	v_mov_b32_e32 v6, v36                                      // 000000005C28: 7E0C0324
	s_mov_b64 s[60:61], 0                                      // 000000005C2C: BEBC0180
	v_readlane_b32 s82, v3, 2                                  // 000000005C30: D2890052 00010503
	s_and_b32 s82, s82, 0xffffff                               // 000000005C38: 8652FF52 00FFFFFF
	s_cmp_lt_u32 s82, s66                                      // 000000005C40: BF0A4252
	s_cselect_b32 s20, s36, s60                                // 000000005C44: 85143C24
	v_readlane_b32 s82, v3, 3                                  // 000000005C48: D2890052 00010703
	s_and_b32 s82, s82, 0xffffff                               // 000000005C50: 8652FF52 00FFFFFF
	s_cmp_lt_u32 s82, s66                                      // 000000005C58: BF0A4252
	s_cselect_b32 s21, s36, s60                                // 000000005C5C: 85153C24
	s_mov_b64 exec, s[20:21]                                   // 000000005C60: BEFE0114
	global_atomic_add_f32 v6, v49, s[8:9]                      // 000000005C64: DD348000 00083106
	global_atomic_add_f32 v6, v53, s[8:9] offset:256           // 000000005C6C: DD348100 00083506
	global_atomic_add_f32 v6, v57, s[8:9] offset:512           // 000000005C74: DD348200 00083906
	global_atomic_add_f32 v6, v61, s[8:9] offset:768           // 000000005C7C: DD348300 00083D06
	global_atomic_add_f32 v6, v65, s[8:9] offset:1024          // 000000005C84: DD348400 00084106
	global_atomic_add_f32 v6, v69, s[8:9] offset:1280          // 000000005C8C: DD348500 00084506
	global_atomic_add_f32 v6, v73, s[8:9] offset:1536          // 000000005C94: DD348600 00084906
	global_atomic_add_f32 v6, v77, s[8:9] offset:1792          // 000000005C9C: DD348700 00084D06
	s_mov_b64 exec, s[36:37]                                   // 000000005CA4: BEFE0124
	ds_write_b64 v20, v[50:51]                                 // 000000005CA8: D89A0000 00003214
	ds_write_b64 v20, v[54:55] offset:2176                     // 000000005CB0: D89A0880 00003614
	ds_write_b64 v20, v[58:59] offset:4352                     // 000000005CB8: D89A1100 00003A14
	ds_write_b64 v20, v[62:63] offset:6528                     // 000000005CC0: D89A1980 00003E14
	ds_write_b64 v20, v[66:67] offset:8704                     // 000000005CC8: D89A2200 00004214
	ds_write_b64 v20, v[70:71] offset:10880                    // 000000005CD0: D89A2A80 00004614
	ds_write_b64 v20, v[74:75] offset:13056                    // 000000005CD8: D89A3300 00004A14
	ds_write_b64 v20, v[78:79] offset:15232                    // 000000005CE0: D89A3B80 00004E14
	s_waitcnt lgkmcnt(0)                                       // 000000005CE8: BF8CC07F
	s_barrier                                                  // 000000005CEC: BF8A0000
	ds_read_b32 v50, v21                                       // 000000005CF0: D86C0000 32000015
	ds_read_b32 v51, v21 offset:64                             // 000000005CF8: D86C0040 33000015
	ds_read_b32 v54, v21 offset:2176                           // 000000005D00: D86C0880 36000015
	ds_read_b32 v55, v21 offset:2240                           // 000000005D08: D86C08C0 37000015
	ds_read_b32 v58, v21 offset:4352                           // 000000005D10: D86C1100 3A000015
	ds_read_b32 v59, v21 offset:4416                           // 000000005D18: D86C1140 3B000015
	ds_read_b32 v62, v21 offset:6528                           // 000000005D20: D86C1980 3E000015
	ds_read_b32 v63, v21 offset:6592                           // 000000005D28: D86C19C0 3F000015
	ds_read_b32 v66, v21 offset:8704                           // 000000005D30: D86C2200 42000015
	ds_read_b32 v67, v21 offset:8768                           // 000000005D38: D86C2240 43000015
	ds_read_b32 v70, v21 offset:10880                          // 000000005D40: D86C2A80 46000015
	ds_read_b32 v71, v21 offset:10944                          // 000000005D48: D86C2AC0 47000015
	ds_read_b32 v74, v21 offset:13056                          // 000000005D50: D86C3300 4A000015
	ds_read_b32 v75, v21 offset:13120                          // 000000005D58: D86C3340 4B000015
	ds_read_b32 v78, v21 offset:15232                          // 000000005D60: D86C3B80 4E000015
	ds_read_b32 v79, v21 offset:15296                          // 000000005D68: D86C3BC0 4F000015
	s_waitcnt lgkmcnt(0)                                       // 000000005D70: BF8CC07F
	v_mov_b32_e32 v7, 0                                        // 000000005D74: 7E0E0280
	s_mov_b64 exec, s[36:37]                                   // 000000005D78: BEFE0124
	v_mov_b32_e32 v6, v35                                      // 000000005D7C: 7E0C0323
	s_mov_b64 s[60:61], 0                                      // 000000005D80: BEBC0180
	v_readlane_b32 s82, v3, 0                                  // 000000005D84: D2890052 00010103
	s_and_b32 s82, s82, 0xffffff                               // 000000005D8C: 8652FF52 00FFFFFF
	s_cmp_lt_u32 s82, s66                                      // 000000005D94: BF0A4252
	s_cselect_b32 s20, s36, s60                                // 000000005D98: 85143C24
	v_readlane_b32 s82, v3, 1                                  // 000000005D9C: D2890052 00010303
	s_and_b32 s82, s82, 0xffffff                               // 000000005DA4: 8652FF52 00FFFFFF
	s_cmp_lt_u32 s82, s66                                      // 000000005DAC: BF0A4252
	s_cselect_b32 s21, s36, s60                                // 000000005DB0: 85153C24
	s_mov_b64 exec, s[20:21]                                   // 000000005DB4: BEFE0114
	global_atomic_add_f32 v6, v50, s[8:9] offset:8             // 000000005DB8: DD348008 00083206
	global_atomic_add_f32 v6, v54, s[8:9] offset:264           // 000000005DC0: DD348108 00083606
	global_atomic_add_f32 v6, v58, s[8:9] offset:520           // 000000005DC8: DD348208 00083A06
	global_atomic_add_f32 v6, v62, s[8:9] offset:776           // 000000005DD0: DD348308 00083E06
	global_atomic_add_f32 v6, v66, s[8:9] offset:1032          // 000000005DD8: DD348408 00084206
	global_atomic_add_f32 v6, v70, s[8:9] offset:1288          // 000000005DE0: DD348508 00084606
	global_atomic_add_f32 v6, v74, s[8:9] offset:1544          // 000000005DE8: DD348608 00084A06
	global_atomic_add_f32 v6, v78, s[8:9] offset:1800          // 000000005DF0: DD348708 00084E06
	s_mov_b64 exec, s[36:37]                                   // 000000005DF8: BEFE0124
	v_mov_b32_e32 v6, v36                                      // 000000005DFC: 7E0C0324
	s_mov_b64 s[60:61], 0                                      // 000000005E00: BEBC0180
	v_readlane_b32 s82, v3, 2                                  // 000000005E04: D2890052 00010503
	s_and_b32 s82, s82, 0xffffff                               // 000000005E0C: 8652FF52 00FFFFFF
	s_cmp_lt_u32 s82, s66                                      // 000000005E14: BF0A4252
	s_cselect_b32 s20, s36, s60                                // 000000005E18: 85143C24
	v_readlane_b32 s82, v3, 3                                  // 000000005E1C: D2890052 00010703
	s_and_b32 s82, s82, 0xffffff                               // 000000005E24: 8652FF52 00FFFFFF
	s_cmp_lt_u32 s82, s66                                      // 000000005E2C: BF0A4252
	s_cselect_b32 s21, s36, s60                                // 000000005E30: 85153C24
	s_mov_b64 exec, s[20:21]                                   // 000000005E34: BEFE0114
	global_atomic_add_f32 v6, v51, s[8:9] offset:8             // 000000005E38: DD348008 00083306
	global_atomic_add_f32 v6, v55, s[8:9] offset:264           // 000000005E40: DD348108 00083706
	global_atomic_add_f32 v6, v59, s[8:9] offset:520           // 000000005E48: DD348208 00083B06
	global_atomic_add_f32 v6, v63, s[8:9] offset:776           // 000000005E50: DD348308 00083F06
	global_atomic_add_f32 v6, v67, s[8:9] offset:1032          // 000000005E58: DD348408 00084306
	global_atomic_add_f32 v6, v71, s[8:9] offset:1288          // 000000005E60: DD348508 00084706
	global_atomic_add_f32 v6, v75, s[8:9] offset:1544          // 000000005E68: DD348608 00084B06
	global_atomic_add_f32 v6, v79, s[8:9] offset:1800          // 000000005E70: DD348708 00084F06
	s_mov_b64 exec, s[36:37]                                   // 000000005E78: BEFE0124
	ds_write_b64 v20, v[80:81]                                 // 000000005E7C: D89A0000 00005014
	ds_write_b64 v20, v[84:85] offset:2176                     // 000000005E84: D89A0880 00005414
	ds_write_b64 v20, v[88:89] offset:4352                     // 000000005E8C: D89A1100 00005814
	ds_write_b64 v20, v[92:93] offset:6528                     // 000000005E94: D89A1980 00005C14
	ds_write_b64 v20, v[96:97] offset:8704                     // 000000005E9C: D89A2200 00006014
	ds_write_b64 v20, v[100:101] offset:10880                  // 000000005EA4: D89A2A80 00006414
	ds_write_b64 v20, v[104:105] offset:13056                  // 000000005EAC: D89A3300 00006814
	ds_write_b64 v20, v[108:109] offset:15232                  // 000000005EB4: D89A3B80 00006C14
	s_waitcnt lgkmcnt(0)                                       // 000000005EBC: BF8CC07F
	s_barrier                                                  // 000000005EC0: BF8A0000
	ds_read_b32 v80, v21                                       // 000000005EC4: D86C0000 50000015
	ds_read_b32 v81, v21 offset:64                             // 000000005ECC: D86C0040 51000015
	ds_read_b32 v84, v21 offset:2176                           // 000000005ED4: D86C0880 54000015
	ds_read_b32 v85, v21 offset:2240                           // 000000005EDC: D86C08C0 55000015
	ds_read_b32 v88, v21 offset:4352                           // 000000005EE4: D86C1100 58000015
	ds_read_b32 v89, v21 offset:4416                           // 000000005EEC: D86C1140 59000015
	ds_read_b32 v92, v21 offset:6528                           // 000000005EF4: D86C1980 5C000015
	ds_read_b32 v93, v21 offset:6592                           // 000000005EFC: D86C19C0 5D000015
	ds_read_b32 v96, v21 offset:8704                           // 000000005F04: D86C2200 60000015
	ds_read_b32 v97, v21 offset:8768                           // 000000005F0C: D86C2240 61000015
	ds_read_b32 v100, v21 offset:10880                         // 000000005F14: D86C2A80 64000015
	ds_read_b32 v101, v21 offset:10944                         // 000000005F1C: D86C2AC0 65000015
	ds_read_b32 v104, v21 offset:13056                         // 000000005F24: D86C3300 68000015
	ds_read_b32 v105, v21 offset:13120                         // 000000005F2C: D86C3340 69000015
	ds_read_b32 v108, v21 offset:15232                         // 000000005F34: D86C3B80 6C000015
	ds_read_b32 v109, v21 offset:15296                         // 000000005F3C: D86C3BC0 6D000015
	s_mul_i32 s60, s65, 4                                      // 000000005F44: 923C8441
	s_add_u32 s8, s60, s8                                      // 000000005F48: 8008083C
	s_addc_u32 s9, 0, s9                                       // 000000005F4C: 82090980
	s_waitcnt lgkmcnt(0)                                       // 000000005F50: BF8CC07F
	v_mov_b32_e32 v7, 0                                        // 000000005F54: 7E0E0280
	s_mov_b64 exec, s[36:37]                                   // 000000005F58: BEFE0124
	v_mov_b32_e32 v6, v35                                      // 000000005F5C: 7E0C0323
	s_mov_b64 s[60:61], 0                                      // 000000005F60: BEBC0180
	v_readlane_b32 s82, v3, 0                                  // 000000005F64: D2890052 00010103
	s_and_b32 s82, s82, 0xffffff                               // 000000005F6C: 8652FF52 00FFFFFF
	s_cmp_lt_u32 s82, s66                                      // 000000005F74: BF0A4252
	s_cselect_b32 s20, s36, s60                                // 000000005F78: 85143C24
	v_readlane_b32 s82, v3, 1                                  // 000000005F7C: D2890052 00010303
	s_and_b32 s82, s82, 0xffffff                               // 000000005F84: 8652FF52 00FFFFFF
	s_cmp_lt_u32 s82, s66                                      // 000000005F8C: BF0A4252
	s_cselect_b32 s21, s36, s60                                // 000000005F90: 85153C24
	s_mov_b64 exec, s[20:21]                                   // 000000005F94: BEFE0114
	global_atomic_add_f32 v6, v80, s[8:9]                      // 000000005F98: DD348000 00085006
	global_atomic_add_f32 v6, v84, s[8:9] offset:256           // 000000005FA0: DD348100 00085406
	global_atomic_add_f32 v6, v88, s[8:9] offset:512           // 000000005FA8: DD348200 00085806
	global_atomic_add_f32 v6, v92, s[8:9] offset:768           // 000000005FB0: DD348300 00085C06
	global_atomic_add_f32 v6, v96, s[8:9] offset:1024          // 000000005FB8: DD348400 00086006
	global_atomic_add_f32 v6, v100, s[8:9] offset:1280         // 000000005FC0: DD348500 00086406
	global_atomic_add_f32 v6, v104, s[8:9] offset:1536         // 000000005FC8: DD348600 00086806
	global_atomic_add_f32 v6, v108, s[8:9] offset:1792         // 000000005FD0: DD348700 00086C06
	s_mov_b64 exec, s[36:37]                                   // 000000005FD8: BEFE0124
	v_mov_b32_e32 v6, v36                                      // 000000005FDC: 7E0C0324
	s_mov_b64 s[60:61], 0                                      // 000000005FE0: BEBC0180
	v_readlane_b32 s82, v3, 2                                  // 000000005FE4: D2890052 00010503
	s_and_b32 s82, s82, 0xffffff                               // 000000005FEC: 8652FF52 00FFFFFF
	s_cmp_lt_u32 s82, s66                                      // 000000005FF4: BF0A4252
	s_cselect_b32 s20, s36, s60                                // 000000005FF8: 85143C24
	v_readlane_b32 s82, v3, 3                                  // 000000005FFC: D2890052 00010703
	s_and_b32 s82, s82, 0xffffff                               // 000000006004: 8652FF52 00FFFFFF
	s_cmp_lt_u32 s82, s66                                      // 00000000600C: BF0A4252
	s_cselect_b32 s21, s36, s60                                // 000000006010: 85153C24
	s_mov_b64 exec, s[20:21]                                   // 000000006014: BEFE0114
	global_atomic_add_f32 v6, v81, s[8:9]                      // 000000006018: DD348000 00085106
	global_atomic_add_f32 v6, v85, s[8:9] offset:256           // 000000006020: DD348100 00085506
	global_atomic_add_f32 v6, v89, s[8:9] offset:512           // 000000006028: DD348200 00085906
	global_atomic_add_f32 v6, v93, s[8:9] offset:768           // 000000006030: DD348300 00085D06
	global_atomic_add_f32 v6, v97, s[8:9] offset:1024          // 000000006038: DD348400 00086106
	global_atomic_add_f32 v6, v101, s[8:9] offset:1280         // 000000006040: DD348500 00086506
	global_atomic_add_f32 v6, v105, s[8:9] offset:1536         // 000000006048: DD348600 00086906
	global_atomic_add_f32 v6, v109, s[8:9] offset:1792         // 000000006050: DD348700 00086D06
	s_mov_b64 exec, s[36:37]                                   // 000000006058: BEFE0124
	ds_write_b64 v20, v[82:83]                                 // 00000000605C: D89A0000 00005214
	ds_write_b64 v20, v[86:87] offset:2176                     // 000000006064: D89A0880 00005614
	ds_write_b64 v20, v[90:91] offset:4352                     // 00000000606C: D89A1100 00005A14
	ds_write_b64 v20, v[94:95] offset:6528                     // 000000006074: D89A1980 00005E14
	ds_write_b64 v20, v[98:99] offset:8704                     // 00000000607C: D89A2200 00006214
	ds_write_b64 v20, v[102:103] offset:10880                  // 000000006084: D89A2A80 00006614
	ds_write_b64 v20, v[106:107] offset:13056                  // 00000000608C: D89A3300 00006A14
	ds_write_b64 v20, v[110:111] offset:15232                  // 000000006094: D89A3B80 00006E14
	s_waitcnt lgkmcnt(0)                                       // 00000000609C: BF8CC07F
	s_barrier                                                  // 0000000060A0: BF8A0000
	ds_read_b32 v82, v21                                       // 0000000060A4: D86C0000 52000015
	ds_read_b32 v83, v21 offset:64                             // 0000000060AC: D86C0040 53000015
	ds_read_b32 v86, v21 offset:2176                           // 0000000060B4: D86C0880 56000015
	ds_read_b32 v87, v21 offset:2240                           // 0000000060BC: D86C08C0 57000015
	ds_read_b32 v90, v21 offset:4352                           // 0000000060C4: D86C1100 5A000015
	ds_read_b32 v91, v21 offset:4416                           // 0000000060CC: D86C1140 5B000015
	ds_read_b32 v94, v21 offset:6528                           // 0000000060D4: D86C1980 5E000015
	ds_read_b32 v95, v21 offset:6592                           // 0000000060DC: D86C19C0 5F000015
	ds_read_b32 v98, v21 offset:8704                           // 0000000060E4: D86C2200 62000015
	ds_read_b32 v99, v21 offset:8768                           // 0000000060EC: D86C2240 63000015
	ds_read_b32 v102, v21 offset:10880                         // 0000000060F4: D86C2A80 66000015
	ds_read_b32 v103, v21 offset:10944                         // 0000000060FC: D86C2AC0 67000015
	ds_read_b32 v106, v21 offset:13056                         // 000000006104: D86C3300 6A000015
	ds_read_b32 v107, v21 offset:13120                         // 00000000610C: D86C3340 6B000015
	ds_read_b32 v110, v21 offset:15232                         // 000000006114: D86C3B80 6E000015
	ds_read_b32 v111, v21 offset:15296                         // 00000000611C: D86C3BC0 6F000015
	s_waitcnt lgkmcnt(0)                                       // 000000006124: BF8CC07F
	v_mov_b32_e32 v7, 0                                        // 000000006128: 7E0E0280
	s_mov_b64 exec, s[36:37]                                   // 00000000612C: BEFE0124
	v_mov_b32_e32 v6, v35                                      // 000000006130: 7E0C0323
	s_mov_b64 s[60:61], 0                                      // 000000006134: BEBC0180
	v_readlane_b32 s82, v3, 0                                  // 000000006138: D2890052 00010103
	s_and_b32 s82, s82, 0xffffff                               // 000000006140: 8652FF52 00FFFFFF
	s_cmp_lt_u32 s82, s66                                      // 000000006148: BF0A4252
	s_cselect_b32 s20, s36, s60                                // 00000000614C: 85143C24
	v_readlane_b32 s82, v3, 1                                  // 000000006150: D2890052 00010303
	s_and_b32 s82, s82, 0xffffff                               // 000000006158: 8652FF52 00FFFFFF
	s_cmp_lt_u32 s82, s66                                      // 000000006160: BF0A4252
	s_cselect_b32 s21, s36, s60                                // 000000006164: 85153C24
	s_mov_b64 exec, s[20:21]                                   // 000000006168: BEFE0114
	global_atomic_add_f32 v6, v82, s[8:9] offset:8             // 00000000616C: DD348008 00085206
	global_atomic_add_f32 v6, v86, s[8:9] offset:264           // 000000006174: DD348108 00085606
	global_atomic_add_f32 v6, v90, s[8:9] offset:520           // 00000000617C: DD348208 00085A06
	global_atomic_add_f32 v6, v94, s[8:9] offset:776           // 000000006184: DD348308 00085E06
	global_atomic_add_f32 v6, v98, s[8:9] offset:1032          // 00000000618C: DD348408 00086206
	global_atomic_add_f32 v6, v102, s[8:9] offset:1288         // 000000006194: DD348508 00086606
	global_atomic_add_f32 v6, v106, s[8:9] offset:1544         // 00000000619C: DD348608 00086A06
	global_atomic_add_f32 v6, v110, s[8:9] offset:1800         // 0000000061A4: DD348708 00086E06
	s_mov_b64 exec, s[36:37]                                   // 0000000061AC: BEFE0124
	v_mov_b32_e32 v6, v36                                      // 0000000061B0: 7E0C0324
	s_mov_b64 s[60:61], 0                                      // 0000000061B4: BEBC0180
	v_readlane_b32 s82, v3, 2                                  // 0000000061B8: D2890052 00010503
	s_and_b32 s82, s82, 0xffffff                               // 0000000061C0: 8652FF52 00FFFFFF
	s_cmp_lt_u32 s82, s66                                      // 0000000061C8: BF0A4252
	s_cselect_b32 s20, s36, s60                                // 0000000061CC: 85143C24
	v_readlane_b32 s82, v3, 3                                  // 0000000061D0: D2890052 00010703
	s_and_b32 s82, s82, 0xffffff                               // 0000000061D8: 8652FF52 00FFFFFF
	s_cmp_lt_u32 s82, s66                                      // 0000000061E0: BF0A4252
	s_cselect_b32 s21, s36, s60                                // 0000000061E4: 85153C24
	s_mov_b64 exec, s[20:21]                                   // 0000000061E8: BEFE0114
	global_atomic_add_f32 v6, v83, s[8:9] offset:8             // 0000000061EC: DD348008 00085306
	global_atomic_add_f32 v6, v87, s[8:9] offset:264           // 0000000061F4: DD348108 00085706
	global_atomic_add_f32 v6, v91, s[8:9] offset:520           // 0000000061FC: DD348208 00085B06
	global_atomic_add_f32 v6, v95, s[8:9] offset:776           // 000000006204: DD348308 00085F06
	global_atomic_add_f32 v6, v99, s[8:9] offset:1032          // 00000000620C: DD348408 00086306
	global_atomic_add_f32 v6, v103, s[8:9] offset:1288         // 000000006214: DD348508 00086706
	global_atomic_add_f32 v6, v107, s[8:9] offset:1544         // 00000000621C: DD348608 00086B06
	global_atomic_add_f32 v6, v111, s[8:9] offset:1800         // 000000006224: DD348708 00086F06
	s_mov_b64 exec, s[36:37]                                   // 00000000622C: BEFE0124
	s_branch label_1A1B                                        // 000000006230: BF820C0B

0000000000006234 <label_0E10>:
	s_waitcnt vmcnt(18) lgkmcnt(0)                             // 000000006234: BF8C4072
	v_mfma_f32_16x16x32_fp8_fp8 v[48:51], a[16:17], a[0:1], v[48:51]// 000000006238: D3F30030 1CC20110
	buffer_load_dwordx4 a[144:147], v37, s[24:27], 0 offen     // 000000006240: E05C1000 80869025
	v_mfma_f32_16x16x32_fp8_fp8 v[48:51], a[18:19], a[2:3], v[48:51]// 000000006248: D3F30030 1CC20512
	v_mfma_f32_16x16x32_fp8_fp8 v[48:51], a[20:21], a[4:5], v[48:51]// 000000006250: D3F30030 1CC20914
	v_mfma_f32_16x16x32_fp8_fp8 v[48:51], a[22:23], a[6:7], v[48:51]// 000000006258: D3F30030 1CC20D16
	v_mfma_f32_16x16x32_fp8_fp8 v[52:55], a[24:25], a[0:1], v[52:55]// 000000006260: D3F30034 1CD20118
	buffer_load_dwordx4 a[148:151], v37, s[24:27], 0 offen offset:1024// 000000006268: E05C1400 80869425
	v_mfma_f32_16x16x32_fp8_fp8 v[52:55], a[26:27], a[2:3], v[52:55]// 000000006270: D3F30034 1CD2051A
	v_mfma_f32_16x16x32_fp8_fp8 v[52:55], a[28:29], a[4:5], v[52:55]// 000000006278: D3F30034 1CD2091C
	v_mfma_f32_16x16x32_fp8_fp8 v[52:55], a[30:31], a[6:7], v[52:55]// 000000006280: D3F30034 1CD20D1E
	v_mfma_f32_16x16x32_fp8_fp8 v[56:59], a[32:33], a[0:1], v[56:59]// 000000006288: D3F30038 1CE20120
	buffer_load_dwordx4 a[152:155], v38, s[24:27], 0 offen     // 000000006290: E05C1000 80869826
	v_mfma_f32_16x16x32_fp8_fp8 v[56:59], a[34:35], a[2:3], v[56:59]// 000000006298: D3F30038 1CE20522
	v_mfma_f32_16x16x32_fp8_fp8 v[56:59], a[36:37], a[4:5], v[56:59]// 0000000062A0: D3F30038 1CE20924
	v_mfma_f32_16x16x32_fp8_fp8 v[56:59], a[38:39], a[6:7], v[56:59]// 0000000062A8: D3F30038 1CE20D26
	v_mfma_f32_16x16x32_fp8_fp8 v[60:63], a[40:41], a[0:1], v[60:63]// 0000000062B0: D3F3003C 1CF20128
	buffer_load_dwordx4 a[156:159], v38, s[24:27], 0 offen offset:1024// 0000000062B8: E05C1400 80869C26
	v_mfma_f32_16x16x32_fp8_fp8 v[60:63], a[42:43], a[2:3], v[60:63]// 0000000062C0: D3F3003C 1CF2052A
	v_mfma_f32_16x16x32_fp8_fp8 v[60:63], a[44:45], a[4:5], v[60:63]// 0000000062C8: D3F3003C 1CF2092C
	v_mfma_f32_16x16x32_fp8_fp8 v[60:63], a[46:47], a[6:7], v[60:63]// 0000000062D0: D3F3003C 1CF20D2E
	v_mfma_f32_16x16x32_fp8_fp8 v[64:67], a[48:49], a[0:1], v[64:67]// 0000000062D8: D3F30040 1D020130
	buffer_load_dwordx4 a[160:163], v39, s[24:27], 0 offen     // 0000000062E0: E05C1000 8086A027
	v_mfma_f32_16x16x32_fp8_fp8 v[64:67], a[50:51], a[2:3], v[64:67]// 0000000062E8: D3F30040 1D020532
	v_mfma_f32_16x16x32_fp8_fp8 v[64:67], a[52:53], a[4:5], v[64:67]// 0000000062F0: D3F30040 1D020934
	v_mfma_f32_16x16x32_fp8_fp8 v[64:67], a[54:55], a[6:7], v[64:67]// 0000000062F8: D3F30040 1D020D36
	v_mfma_f32_16x16x32_fp8_fp8 v[68:71], a[56:57], a[0:1], v[68:71]// 000000006300: D3F30044 1D120138
	buffer_load_dwordx4 a[164:167], v39, s[24:27], 0 offen offset:1024// 000000006308: E05C1400 8086A427
	v_mfma_f32_16x16x32_fp8_fp8 v[68:71], a[58:59], a[2:3], v[68:71]// 000000006310: D3F30044 1D12053A
	v_mfma_f32_16x16x32_fp8_fp8 v[68:71], a[60:61], a[4:5], v[68:71]// 000000006318: D3F30044 1D12093C
	v_mfma_f32_16x16x32_fp8_fp8 v[68:71], a[62:63], a[6:7], v[68:71]// 000000006320: D3F30044 1D120D3E
	v_mfma_f32_16x16x32_fp8_fp8 v[72:75], a[64:65], a[0:1], v[72:75]// 000000006328: D3F30048 1D220140
	buffer_load_dwordx4 a[168:171], v40, s[24:27], 0 offen     // 000000006330: E05C1000 8086A828
	v_mfma_f32_16x16x32_fp8_fp8 v[72:75], a[66:67], a[2:3], v[72:75]// 000000006338: D3F30048 1D220542
	v_mfma_f32_16x16x32_fp8_fp8 v[72:75], a[68:69], a[4:5], v[72:75]// 000000006340: D3F30048 1D220944
	v_mfma_f32_16x16x32_fp8_fp8 v[72:75], a[70:71], a[6:7], v[72:75]// 000000006348: D3F30048 1D220D46
	v_mfma_f32_16x16x32_fp8_fp8 v[76:79], a[72:73], a[0:1], v[76:79]// 000000006350: D3F3004C 1D320148
	buffer_load_dwordx4 a[172:175], v40, s[24:27], 0 offen offset:1024// 000000006358: E05C1400 8086AC28
	v_mfma_f32_16x16x32_fp8_fp8 v[76:79], a[74:75], a[2:3], v[76:79]// 000000006360: D3F3004C 1D32054A
	v_mfma_f32_16x16x32_fp8_fp8 v[76:79], a[76:77], a[4:5], v[76:79]// 000000006368: D3F3004C 1D32094C
	v_mfma_f32_16x16x32_fp8_fp8 v[76:79], a[78:79], a[6:7], v[76:79]// 000000006370: D3F3004C 1D320D4E
	buffer_load_dwordx4 a[176:179], v41, s[24:27], 0 offen     // 000000006378: E05C1000 8086B029
	buffer_load_dwordx4 a[180:183], v41, s[24:27], 0 offen offset:1024// 000000006380: E05C1400 8086B429
	buffer_load_dwordx4 a[184:187], v42, s[24:27], 0 offen     // 000000006388: E05C1000 8086B82A
	buffer_load_dwordx4 a[188:191], v42, s[24:27], 0 offen offset:1024// 000000006390: E05C1400 8086BC2A
	buffer_load_dwordx4 a[192:195], v43, s[24:27], 0 offen     // 000000006398: E05C1000 8086C02B
	buffer_load_dwordx4 a[196:199], v43, s[24:27], 0 offen offset:1024// 0000000063A0: E05C1400 8086C42B
	buffer_load_dwordx4 a[200:203], v44, s[24:27], 0 offen     // 0000000063A8: E05C1000 8086C82C
	buffer_load_dwordx4 a[204:207], v44, s[24:27], 0 offen offset:1024// 0000000063B0: E05C1400 8086CC2C
	buffer_load_dword v35, s[20:23], 0 offen lds               // 0000000063B8: E0511000 80050023
	s_add_u32 m0, 0x100, s50                                   // 0000000063C0: 807C32FF 00000100
	buffer_load_dword v36, s[20:23], 0 offen lds               // 0000000063C8: E0511000 80050024
	s_add_u32 m0, 0, s48                                       // 0000000063D0: 807C3080
	s_waitcnt vmcnt(18)                                        // 0000000063D4: BF8C4F72
	s_barrier                                                  // 0000000063D8: BF8A0000
	v_mfma_f32_16x16x32_fp8_fp8 v[80:83], a[80:81], a[0:1], v[80:83]// 0000000063DC: D3F30050 1D420150
	buffer_load_dwordx4 a[16:19], v37, s[84:87], 0 offen       // 0000000063E4: E05C1000 80951025
	v_mfma_f32_16x16x32_fp8_fp8 v[80:83], a[82:83], a[2:3], v[80:83]// 0000000063EC: D3F30050 1D420552
	v_mfma_f32_16x16x32_fp8_fp8 v[80:83], a[84:85], a[4:5], v[80:83]// 0000000063F4: D3F30050 1D420954
	ds_read_b128 a[8:11], v2 offset:2176                       // 0000000063FC: DBFE0880 08000002
	ds_read_b128 a[12:15], v2 offset:2240                      // 000000006404: DBFE08C0 0C000002
	v_mfma_f32_16x16x32_fp8_fp8 v[80:83], a[86:87], a[6:7], v[80:83]// 00000000640C: D3F30050 1D420D56
	v_mfma_f32_16x16x32_fp8_fp8 v[84:87], a[88:89], a[0:1], v[84:87]// 000000006414: D3F30054 1D520158
	buffer_load_dwordx4 a[20:23], v37, s[84:87], 0 offen offset:1024// 00000000641C: E05C1400 80951425
	v_mfma_f32_16x16x32_fp8_fp8 v[84:87], a[90:91], a[2:3], v[84:87]// 000000006424: D3F30054 1D52055A
	v_mfma_f32_16x16x32_fp8_fp8 v[84:87], a[92:93], a[4:5], v[84:87]// 00000000642C: D3F30054 1D52095C
	v_mfma_f32_16x16x32_fp8_fp8 v[84:87], a[94:95], a[6:7], v[84:87]// 000000006434: D3F30054 1D520D5E
	v_mfma_f32_16x16x32_fp8_fp8 v[88:91], a[96:97], a[0:1], v[88:91]// 00000000643C: D3F30058 1D620160
	buffer_load_dwordx4 a[24:27], v38, s[84:87], 0 offen       // 000000006444: E05C1000 80951826
	v_mfma_f32_16x16x32_fp8_fp8 v[88:91], a[98:99], a[2:3], v[88:91]// 00000000644C: D3F30058 1D620562
	v_mfma_f32_16x16x32_fp8_fp8 v[88:91], a[100:101], a[4:5], v[88:91]// 000000006454: D3F30058 1D620964
	v_mfma_f32_16x16x32_fp8_fp8 v[88:91], a[102:103], a[6:7], v[88:91]// 00000000645C: D3F30058 1D620D66
	v_mfma_f32_16x16x32_fp8_fp8 v[92:95], a[104:105], a[0:1], v[92:95]// 000000006464: D3F3005C 1D720168
	buffer_load_dwordx4 a[28:31], v38, s[84:87], 0 offen offset:1024// 00000000646C: E05C1400 80951C26
	v_mfma_f32_16x16x32_fp8_fp8 v[92:95], a[106:107], a[2:3], v[92:95]// 000000006474: D3F3005C 1D72056A
	v_mfma_f32_16x16x32_fp8_fp8 v[92:95], a[108:109], a[4:5], v[92:95]// 00000000647C: D3F3005C 1D72096C
	v_mfma_f32_16x16x32_fp8_fp8 v[92:95], a[110:111], a[6:7], v[92:95]// 000000006484: D3F3005C 1D720D6E
	v_mfma_f32_16x16x32_fp8_fp8 v[96:99], a[112:113], a[0:1], v[96:99]// 00000000648C: D3F30060 1D820170
	buffer_load_dwordx4 a[32:35], v39, s[84:87], 0 offen       // 000000006494: E05C1000 80952027
	v_mfma_f32_16x16x32_fp8_fp8 v[96:99], a[114:115], a[2:3], v[96:99]// 00000000649C: D3F30060 1D820572
	v_mfma_f32_16x16x32_fp8_fp8 v[96:99], a[116:117], a[4:5], v[96:99]// 0000000064A4: D3F30060 1D820974
	v_mfma_f32_16x16x32_fp8_fp8 v[96:99], a[118:119], a[6:7], v[96:99]// 0000000064AC: D3F30060 1D820D76
	v_mfma_f32_16x16x32_fp8_fp8 v[100:103], a[120:121], a[0:1], v[100:103]// 0000000064B4: D3F30064 1D920178
	buffer_load_dwordx4 a[36:39], v39, s[84:87], 0 offen offset:1024// 0000000064BC: E05C1400 80952427
	v_mfma_f32_16x16x32_fp8_fp8 v[100:103], a[122:123], a[2:3], v[100:103]// 0000000064C4: D3F30064 1D92057A
	v_mfma_f32_16x16x32_fp8_fp8 v[100:103], a[124:125], a[4:5], v[100:103]// 0000000064CC: D3F30064 1D92097C
	v_mfma_f32_16x16x32_fp8_fp8 v[100:103], a[126:127], a[6:7], v[100:103]// 0000000064D4: D3F30064 1D920D7E
	v_mfma_f32_16x16x32_fp8_fp8 v[104:107], a[128:129], a[0:1], v[104:107]// 0000000064DC: D3F30068 1DA20180
	buffer_load_dwordx4 a[40:43], v40, s[84:87], 0 offen       // 0000000064E4: E05C1000 80952828
	s_add_u32 s60, 0x180, s80                                  // 0000000064EC: 803C50FF 00000180
	s_cmp_lt_u32 s60, s81                                      // 0000000064F4: BF0A513C
	s_cselect_b32 s57, s57, 0                                  // 0000000064F8: 85398039
	v_mfma_f32_16x16x32_fp8_fp8 v[104:107], a[130:131], a[2:3], v[104:107]// 0000000064FC: D3F30068 1DA20582
	s_add_u32 s60, 0x100, s80                                  // 000000006504: 803C50FF 00000100
	s_cmp_lt_u32 s60, s81                                      // 00000000650C: BF0A513C
	s_cselect_b32 s58, s58, 0                                  // 000000006510: 853A803A
	v_mfma_f32_16x16x32_fp8_fp8 v[104:107], a[132:133], a[4:5], v[104:107]// 000000006514: D3F30068 1DA20984
	s_add_u32 s60, 0x100, s80                                  // 00000000651C: 803C50FF 00000100
	s_cmp_lt_u32 s60, s81                                      // 000000006524: BF0A513C
	s_cselect_b32 s83, s83, 0                                  // 000000006528: 85538053
	v_mfma_f32_16x16x32_fp8_fp8 v[104:107], a[134:135], a[6:7], v[104:107]// 00000000652C: D3F30068 1DA20D86
	s_add_u32 s24, s58, s24                                    // 000000006534: 8018183A
	s_addc_u32 s25, 0, s25                                     // 000000006538: 82191980
	v_mfma_f32_16x16x32_fp8_fp8 v[108:111], a[136:137], a[0:1], v[108:111]// 00000000653C: D3F3006C 1DB20188
	buffer_load_dwordx4 a[44:47], v40, s[84:87], 0 offen offset:1024// 000000006544: E05C1400 80952C28
	s_add_u32 s20, s57, s20                                    // 00000000654C: 80141439
	s_addc_u32 s21, 0, s21                                     // 000000006550: 82151580
	v_mfma_f32_16x16x32_fp8_fp8 v[108:111], a[138:139], a[2:3], v[108:111]// 000000006554: D3F3006C 1DB2058A
	v_mfma_f32_16x16x32_fp8_fp8 v[108:111], a[140:141], a[4:5], v[108:111]// 00000000655C: D3F3006C 1DB2098C
	v_mfma_f32_16x16x32_fp8_fp8 v[108:111], a[142:143], a[6:7], v[108:111]// 000000006564: D3F3006C 1DB20D8E
	buffer_load_dwordx4 a[48:51], v41, s[84:87], 0 offen       // 00000000656C: E05C1000 80953029
	buffer_load_dwordx4 a[52:55], v41, s[84:87], 0 offen offset:1024// 000000006574: E05C1400 80953429
	buffer_load_dwordx4 a[56:59], v42, s[84:87], 0 offen       // 00000000657C: E05C1000 8095382A
	buffer_load_dwordx4 a[60:63], v42, s[84:87], 0 offen offset:1024// 000000006584: E05C1400 80953C2A
	buffer_load_dwordx4 a[64:67], v43, s[84:87], 0 offen       // 00000000658C: E05C1000 8095402B
	buffer_load_dwordx4 a[68:71], v43, s[84:87], 0 offen offset:1024// 000000006594: E05C1400 8095442B
	buffer_load_dwordx4 a[72:75], v44, s[84:87], 0 offen       // 00000000659C: E05C1000 8095482C
	buffer_load_dwordx4 a[76:79], v44, s[84:87], 0 offen offset:1024// 0000000065A4: E05C1400 80954C2C
	s_add_u32 s84, s83, s84                                    // 0000000065AC: 80545453
	s_addc_u32 s85, 0, s85                                     // 0000000065B0: 82555580
	s_addk_i32 s80, 0x80                                       // 0000000065B4: B7500080
	s_cmp_lt_i32 s80, s81                                      // 0000000065B8: BF045150
	s_cbranch_scc0 label_1363                                  // 0000000065BC: BF840470
	s_waitcnt vmcnt(18) lgkmcnt(0)                             // 0000000065C0: BF8C4072
	v_mfma_f32_16x16x32_fp8_fp8 v[48:51], a[144:145], a[8:9], v[48:51]// 0000000065C4: D3F30030 1CC21190
	buffer_load_dwordx4 a[80:83], v37, s[24:27], 0 offen       // 0000000065CC: E05C1000 80865025
	v_mfma_f32_16x16x32_fp8_fp8 v[48:51], a[146:147], a[10:11], v[48:51]// 0000000065D4: D3F30030 1CC21592
	v_mfma_f32_16x16x32_fp8_fp8 v[48:51], a[148:149], a[12:13], v[48:51]// 0000000065DC: D3F30030 1CC21994
	v_mfma_f32_16x16x32_fp8_fp8 v[48:51], a[150:151], a[14:15], v[48:51]// 0000000065E4: D3F30030 1CC21D96
	v_mfma_f32_16x16x32_fp8_fp8 v[52:55], a[152:153], a[8:9], v[52:55]// 0000000065EC: D3F30034 1CD21198
	buffer_load_dwordx4 a[84:87], v37, s[24:27], 0 offen offset:1024// 0000000065F4: E05C1400 80865425
	v_mfma_f32_16x16x32_fp8_fp8 v[52:55], a[154:155], a[10:11], v[52:55]// 0000000065FC: D3F30034 1CD2159A
	v_mfma_f32_16x16x32_fp8_fp8 v[52:55], a[156:157], a[12:13], v[52:55]// 000000006604: D3F30034 1CD2199C
	v_mfma_f32_16x16x32_fp8_fp8 v[52:55], a[158:159], a[14:15], v[52:55]// 00000000660C: D3F30034 1CD21D9E
	v_mfma_f32_16x16x32_fp8_fp8 v[56:59], a[160:161], a[8:9], v[56:59]// 000000006614: D3F30038 1CE211A0
	buffer_load_dwordx4 a[88:91], v38, s[24:27], 0 offen       // 00000000661C: E05C1000 80865826
	v_mfma_f32_16x16x32_fp8_fp8 v[56:59], a[162:163], a[10:11], v[56:59]// 000000006624: D3F30038 1CE215A2
	v_mfma_f32_16x16x32_fp8_fp8 v[56:59], a[164:165], a[12:13], v[56:59]// 00000000662C: D3F30038 1CE219A4
	v_mfma_f32_16x16x32_fp8_fp8 v[56:59], a[166:167], a[14:15], v[56:59]// 000000006634: D3F30038 1CE21DA6
	v_mfma_f32_16x16x32_fp8_fp8 v[60:63], a[168:169], a[8:9], v[60:63]// 00000000663C: D3F3003C 1CF211A8
	buffer_load_dwordx4 a[92:95], v38, s[24:27], 0 offen offset:1024// 000000006644: E05C1400 80865C26
	v_mfma_f32_16x16x32_fp8_fp8 v[60:63], a[170:171], a[10:11], v[60:63]// 00000000664C: D3F3003C 1CF215AA
	v_mfma_f32_16x16x32_fp8_fp8 v[60:63], a[172:173], a[12:13], v[60:63]// 000000006654: D3F3003C 1CF219AC
	v_mfma_f32_16x16x32_fp8_fp8 v[60:63], a[174:175], a[14:15], v[60:63]// 00000000665C: D3F3003C 1CF21DAE
	v_mfma_f32_16x16x32_fp8_fp8 v[64:67], a[176:177], a[8:9], v[64:67]// 000000006664: D3F30040 1D0211B0
	buffer_load_dwordx4 a[96:99], v39, s[24:27], 0 offen       // 00000000666C: E05C1000 80866027
	v_mfma_f32_16x16x32_fp8_fp8 v[64:67], a[178:179], a[10:11], v[64:67]// 000000006674: D3F30040 1D0215B2
	v_mfma_f32_16x16x32_fp8_fp8 v[64:67], a[180:181], a[12:13], v[64:67]// 00000000667C: D3F30040 1D0219B4
	v_mfma_f32_16x16x32_fp8_fp8 v[64:67], a[182:183], a[14:15], v[64:67]// 000000006684: D3F30040 1D021DB6
	v_mfma_f32_16x16x32_fp8_fp8 v[68:71], a[184:185], a[8:9], v[68:71]// 00000000668C: D3F30044 1D1211B8
	buffer_load_dwordx4 a[100:103], v39, s[24:27], 0 offen offset:1024// 000000006694: E05C1400 80866427
	v_mfma_f32_16x16x32_fp8_fp8 v[68:71], a[186:187], a[10:11], v[68:71]// 00000000669C: D3F30044 1D1215BA
	v_mfma_f32_16x16x32_fp8_fp8 v[68:71], a[188:189], a[12:13], v[68:71]// 0000000066A4: D3F30044 1D1219BC
	v_mfma_f32_16x16x32_fp8_fp8 v[68:71], a[190:191], a[14:15], v[68:71]// 0000000066AC: D3F30044 1D121DBE
	v_mfma_f32_16x16x32_fp8_fp8 v[72:75], a[192:193], a[8:9], v[72:75]// 0000000066B4: D3F30048 1D2211C0
	buffer_load_dwordx4 a[104:107], v40, s[24:27], 0 offen     // 0000000066BC: E05C1000 80866828
	v_mfma_f32_16x16x32_fp8_fp8 v[72:75], a[194:195], a[10:11], v[72:75]// 0000000066C4: D3F30048 1D2215C2
	v_mfma_f32_16x16x32_fp8_fp8 v[72:75], a[196:197], a[12:13], v[72:75]// 0000000066CC: D3F30048 1D2219C4
	v_mfma_f32_16x16x32_fp8_fp8 v[72:75], a[198:199], a[14:15], v[72:75]// 0000000066D4: D3F30048 1D221DC6
	v_mfma_f32_16x16x32_fp8_fp8 v[76:79], a[200:201], a[8:9], v[76:79]// 0000000066DC: D3F3004C 1D3211C8
	buffer_load_dwordx4 a[108:111], v40, s[24:27], 0 offen offset:1024// 0000000066E4: E05C1400 80866C28
	v_mfma_f32_16x16x32_fp8_fp8 v[76:79], a[202:203], a[10:11], v[76:79]// 0000000066EC: D3F3004C 1D3215CA
	v_mfma_f32_16x16x32_fp8_fp8 v[76:79], a[204:205], a[12:13], v[76:79]// 0000000066F4: D3F3004C 1D3219CC
	v_mfma_f32_16x16x32_fp8_fp8 v[76:79], a[206:207], a[14:15], v[76:79]// 0000000066FC: D3F3004C 1D321DCE
	buffer_load_dwordx4 a[112:115], v41, s[24:27], 0 offen     // 000000006704: E05C1000 80867029
	buffer_load_dwordx4 a[116:119], v41, s[24:27], 0 offen offset:1024// 00000000670C: E05C1400 80867429
	buffer_load_dwordx4 a[120:123], v42, s[24:27], 0 offen     // 000000006714: E05C1000 8086782A
	buffer_load_dwordx4 a[124:127], v42, s[24:27], 0 offen offset:1024// 00000000671C: E05C1400 80867C2A
	buffer_load_dwordx4 a[128:131], v43, s[24:27], 0 offen     // 000000006724: E05C1000 8086802B
	buffer_load_dwordx4 a[132:135], v43, s[24:27], 0 offen offset:1024// 00000000672C: E05C1400 8086842B
	buffer_load_dwordx4 a[136:139], v44, s[24:27], 0 offen     // 000000006734: E05C1000 8086882C
	buffer_load_dwordx4 a[140:143], v44, s[24:27], 0 offen offset:1024// 00000000673C: E05C1400 80868C2C
	buffer_load_dword v35, s[20:23], 0 offen lds               // 000000006744: E0511000 80050023
	s_add_u32 m0, 0x100, s48                                   // 00000000674C: 807C30FF 00000100
	buffer_load_dword v36, s[20:23], 0 offen lds               // 000000006754: E0511000 80050024
	s_add_u32 m0, 0, s49                                       // 00000000675C: 807C3180
	s_waitcnt vmcnt(18)                                        // 000000006760: BF8C4F72
	s_barrier                                                  // 000000006764: BF8A0000
	v_mfma_f32_16x16x32_fp8_fp8 v[80:83], a[16:17], a[8:9], v[80:83]// 000000006768: D3F30050 1D421110
	buffer_load_dwordx4 a[144:147], v37, s[84:87], 0 offen     // 000000006770: E05C1000 80959025
	v_mfma_f32_16x16x32_fp8_fp8 v[80:83], a[18:19], a[10:11], v[80:83]// 000000006778: D3F30050 1D421512
	v_mfma_f32_16x16x32_fp8_fp8 v[80:83], a[20:21], a[12:13], v[80:83]// 000000006780: D3F30050 1D421914
	ds_read_b128 a[0:3], v2 offset:4352                        // 000000006788: DBFE1100 00000002
	ds_read_b128 a[4:7], v2 offset:4416                        // 000000006790: DBFE1140 04000002
	v_mfma_f32_16x16x32_fp8_fp8 v[80:83], a[22:23], a[14:15], v[80:83]// 000000006798: D3F30050 1D421D16
	v_mfma_f32_16x16x32_fp8_fp8 v[84:87], a[24:25], a[8:9], v[84:87]// 0000000067A0: D3F30054 1D521118
	buffer_load_dwordx4 a[148:151], v37, s[84:87], 0 offen offset:1024// 0000000067A8: E05C1400 80959425
	v_mfma_f32_16x16x32_fp8_fp8 v[84:87], a[26:27], a[10:11], v[84:87]// 0000000067B0: D3F30054 1D52151A
	v_mfma_f32_16x16x32_fp8_fp8 v[84:87], a[28:29], a[12:13], v[84:87]// 0000000067B8: D3F30054 1D52191C
	v_mfma_f32_16x16x32_fp8_fp8 v[84:87], a[30:31], a[14:15], v[84:87]// 0000000067C0: D3F30054 1D521D1E
	v_mfma_f32_16x16x32_fp8_fp8 v[88:91], a[32:33], a[8:9], v[88:91]// 0000000067C8: D3F30058 1D621120
	buffer_load_dwordx4 a[152:155], v38, s[84:87], 0 offen     // 0000000067D0: E05C1000 80959826
	v_mfma_f32_16x16x32_fp8_fp8 v[88:91], a[34:35], a[10:11], v[88:91]// 0000000067D8: D3F30058 1D621522
	v_mfma_f32_16x16x32_fp8_fp8 v[88:91], a[36:37], a[12:13], v[88:91]// 0000000067E0: D3F30058 1D621924
	v_mfma_f32_16x16x32_fp8_fp8 v[88:91], a[38:39], a[14:15], v[88:91]// 0000000067E8: D3F30058 1D621D26
	v_mfma_f32_16x16x32_fp8_fp8 v[92:95], a[40:41], a[8:9], v[92:95]// 0000000067F0: D3F3005C 1D721128
	buffer_load_dwordx4 a[156:159], v38, s[84:87], 0 offen offset:1024// 0000000067F8: E05C1400 80959C26
	v_mfma_f32_16x16x32_fp8_fp8 v[92:95], a[42:43], a[10:11], v[92:95]// 000000006800: D3F3005C 1D72152A
	v_mfma_f32_16x16x32_fp8_fp8 v[92:95], a[44:45], a[12:13], v[92:95]// 000000006808: D3F3005C 1D72192C
	v_mfma_f32_16x16x32_fp8_fp8 v[92:95], a[46:47], a[14:15], v[92:95]// 000000006810: D3F3005C 1D721D2E
	v_mfma_f32_16x16x32_fp8_fp8 v[96:99], a[48:49], a[8:9], v[96:99]// 000000006818: D3F30060 1D821130
	buffer_load_dwordx4 a[160:163], v39, s[84:87], 0 offen     // 000000006820: E05C1000 8095A027
	v_mfma_f32_16x16x32_fp8_fp8 v[96:99], a[50:51], a[10:11], v[96:99]// 000000006828: D3F30060 1D821532
	v_mfma_f32_16x16x32_fp8_fp8 v[96:99], a[52:53], a[12:13], v[96:99]// 000000006830: D3F30060 1D821934
	v_mfma_f32_16x16x32_fp8_fp8 v[96:99], a[54:55], a[14:15], v[96:99]// 000000006838: D3F30060 1D821D36
	v_mfma_f32_16x16x32_fp8_fp8 v[100:103], a[56:57], a[8:9], v[100:103]// 000000006840: D3F30064 1D921138
	buffer_load_dwordx4 a[164:167], v39, s[84:87], 0 offen offset:1024// 000000006848: E05C1400 8095A427
	v_mfma_f32_16x16x32_fp8_fp8 v[100:103], a[58:59], a[10:11], v[100:103]// 000000006850: D3F30064 1D92153A
	v_mfma_f32_16x16x32_fp8_fp8 v[100:103], a[60:61], a[12:13], v[100:103]// 000000006858: D3F30064 1D92193C
	v_mfma_f32_16x16x32_fp8_fp8 v[100:103], a[62:63], a[14:15], v[100:103]// 000000006860: D3F30064 1D921D3E
	v_mfma_f32_16x16x32_fp8_fp8 v[104:107], a[64:65], a[8:9], v[104:107]// 000000006868: D3F30068 1DA21140
	buffer_load_dwordx4 a[168:171], v40, s[84:87], 0 offen     // 000000006870: E05C1000 8095A828
	s_add_u32 s60, 0x180, s80                                  // 000000006878: 803C50FF 00000180
	s_cmp_lt_u32 s60, s81                                      // 000000006880: BF0A513C
	s_cselect_b32 s57, s57, 0                                  // 000000006884: 85398039
	v_mfma_f32_16x16x32_fp8_fp8 v[104:107], a[66:67], a[10:11], v[104:107]// 000000006888: D3F30068 1DA21542
	s_add_u32 s60, 0x100, s80                                  // 000000006890: 803C50FF 00000100
	s_cmp_lt_u32 s60, s81                                      // 000000006898: BF0A513C
	s_cselect_b32 s58, s58, 0                                  // 00000000689C: 853A803A
	v_mfma_f32_16x16x32_fp8_fp8 v[104:107], a[68:69], a[12:13], v[104:107]// 0000000068A0: D3F30068 1DA21944
	s_add_u32 s60, 0x100, s80                                  // 0000000068A8: 803C50FF 00000100
	s_cmp_lt_u32 s60, s81                                      // 0000000068B0: BF0A513C
	s_cselect_b32 s83, s83, 0                                  // 0000000068B4: 85538053
	v_mfma_f32_16x16x32_fp8_fp8 v[104:107], a[70:71], a[14:15], v[104:107]// 0000000068B8: D3F30068 1DA21D46
	s_add_u32 s24, s58, s24                                    // 0000000068C0: 8018183A
	s_addc_u32 s25, 0, s25                                     // 0000000068C4: 82191980
	v_mfma_f32_16x16x32_fp8_fp8 v[108:111], a[72:73], a[8:9], v[108:111]// 0000000068C8: D3F3006C 1DB21148
	buffer_load_dwordx4 a[172:175], v40, s[84:87], 0 offen offset:1024// 0000000068D0: E05C1400 8095AC28
	s_add_u32 s20, s57, s20                                    // 0000000068D8: 80141439
	s_addc_u32 s21, 0, s21                                     // 0000000068DC: 82151580
	v_mfma_f32_16x16x32_fp8_fp8 v[108:111], a[74:75], a[10:11], v[108:111]// 0000000068E0: D3F3006C 1DB2154A
	v_mfma_f32_16x16x32_fp8_fp8 v[108:111], a[76:77], a[12:13], v[108:111]// 0000000068E8: D3F3006C 1DB2194C
	v_mfma_f32_16x16x32_fp8_fp8 v[108:111], a[78:79], a[14:15], v[108:111]// 0000000068F0: D3F3006C 1DB21D4E
	buffer_load_dwordx4 a[176:179], v41, s[84:87], 0 offen     // 0000000068F8: E05C1000 8095B029
	buffer_load_dwordx4 a[180:183], v41, s[84:87], 0 offen offset:1024// 000000006900: E05C1400 8095B429
	buffer_load_dwordx4 a[184:187], v42, s[84:87], 0 offen     // 000000006908: E05C1000 8095B82A
	buffer_load_dwordx4 a[188:191], v42, s[84:87], 0 offen offset:1024// 000000006910: E05C1400 8095BC2A
	buffer_load_dwordx4 a[192:195], v43, s[84:87], 0 offen     // 000000006918: E05C1000 8095C02B
	buffer_load_dwordx4 a[196:199], v43, s[84:87], 0 offen offset:1024// 000000006920: E05C1400 8095C42B
	buffer_load_dwordx4 a[200:203], v44, s[84:87], 0 offen     // 000000006928: E05C1000 8095C82C
	buffer_load_dwordx4 a[204:207], v44, s[84:87], 0 offen offset:1024// 000000006930: E05C1400 8095CC2C
	s_add_u32 s84, s83, s84                                    // 000000006938: 80545453
	s_addc_u32 s85, 0, s85                                     // 00000000693C: 82555580
	s_addk_i32 s80, 0x80                                       // 000000006940: B7500080
	s_cmp_lt_i32 s80, s81                                      // 000000006944: BF045150
	s_cbranch_scc0 label_1363                                  // 000000006948: BF84038D
	s_waitcnt vmcnt(18) lgkmcnt(0)                             // 00000000694C: BF8C4072
	v_mfma_f32_16x16x32_fp8_fp8 v[48:51], a[80:81], a[0:1], v[48:51]// 000000006950: D3F30030 1CC20150
	buffer_load_dwordx4 a[16:19], v37, s[24:27], 0 offen       // 000000006958: E05C1000 80861025
	v_mfma_f32_16x16x32_fp8_fp8 v[48:51], a[82:83], a[2:3], v[48:51]// 000000006960: D3F30030 1CC20552
	v_mfma_f32_16x16x32_fp8_fp8 v[48:51], a[84:85], a[4:5], v[48:51]// 000000006968: D3F30030 1CC20954
	v_mfma_f32_16x16x32_fp8_fp8 v[48:51], a[86:87], a[6:7], v[48:51]// 000000006970: D3F30030 1CC20D56
	v_mfma_f32_16x16x32_fp8_fp8 v[52:55], a[88:89], a[0:1], v[52:55]// 000000006978: D3F30034 1CD20158
	buffer_load_dwordx4 a[20:23], v37, s[24:27], 0 offen offset:1024// 000000006980: E05C1400 80861425
	v_mfma_f32_16x16x32_fp8_fp8 v[52:55], a[90:91], a[2:3], v[52:55]// 000000006988: D3F30034 1CD2055A
	v_mfma_f32_16x16x32_fp8_fp8 v[52:55], a[92:93], a[4:5], v[52:55]// 000000006990: D3F30034 1CD2095C
	v_mfma_f32_16x16x32_fp8_fp8 v[52:55], a[94:95], a[6:7], v[52:55]// 000000006998: D3F30034 1CD20D5E
	v_mfma_f32_16x16x32_fp8_fp8 v[56:59], a[96:97], a[0:1], v[56:59]// 0000000069A0: D3F30038 1CE20160
	buffer_load_dwordx4 a[24:27], v38, s[24:27], 0 offen       // 0000000069A8: E05C1000 80861826
	v_mfma_f32_16x16x32_fp8_fp8 v[56:59], a[98:99], a[2:3], v[56:59]// 0000000069B0: D3F30038 1CE20562
	v_mfma_f32_16x16x32_fp8_fp8 v[56:59], a[100:101], a[4:5], v[56:59]// 0000000069B8: D3F30038 1CE20964
	v_mfma_f32_16x16x32_fp8_fp8 v[56:59], a[102:103], a[6:7], v[56:59]// 0000000069C0: D3F30038 1CE20D66
	v_mfma_f32_16x16x32_fp8_fp8 v[60:63], a[104:105], a[0:1], v[60:63]// 0000000069C8: D3F3003C 1CF20168
	buffer_load_dwordx4 a[28:31], v38, s[24:27], 0 offen offset:1024// 0000000069D0: E05C1400 80861C26
	v_mfma_f32_16x16x32_fp8_fp8 v[60:63], a[106:107], a[2:3], v[60:63]// 0000000069D8: D3F3003C 1CF2056A
	v_mfma_f32_16x16x32_fp8_fp8 v[60:63], a[108:109], a[4:5], v[60:63]// 0000000069E0: D3F3003C 1CF2096C
	v_mfma_f32_16x16x32_fp8_fp8 v[60:63], a[110:111], a[6:7], v[60:63]// 0000000069E8: D3F3003C 1CF20D6E
	v_mfma_f32_16x16x32_fp8_fp8 v[64:67], a[112:113], a[0:1], v[64:67]// 0000000069F0: D3F30040 1D020170
	buffer_load_dwordx4 a[32:35], v39, s[24:27], 0 offen       // 0000000069F8: E05C1000 80862027
	v_mfma_f32_16x16x32_fp8_fp8 v[64:67], a[114:115], a[2:3], v[64:67]// 000000006A00: D3F30040 1D020572
	v_mfma_f32_16x16x32_fp8_fp8 v[64:67], a[116:117], a[4:5], v[64:67]// 000000006A08: D3F30040 1D020974
	v_mfma_f32_16x16x32_fp8_fp8 v[64:67], a[118:119], a[6:7], v[64:67]// 000000006A10: D3F30040 1D020D76
	v_mfma_f32_16x16x32_fp8_fp8 v[68:71], a[120:121], a[0:1], v[68:71]// 000000006A18: D3F30044 1D120178
	buffer_load_dwordx4 a[36:39], v39, s[24:27], 0 offen offset:1024// 000000006A20: E05C1400 80862427
	v_mfma_f32_16x16x32_fp8_fp8 v[68:71], a[122:123], a[2:3], v[68:71]// 000000006A28: D3F30044 1D12057A
	v_mfma_f32_16x16x32_fp8_fp8 v[68:71], a[124:125], a[4:5], v[68:71]// 000000006A30: D3F30044 1D12097C
	v_mfma_f32_16x16x32_fp8_fp8 v[68:71], a[126:127], a[6:7], v[68:71]// 000000006A38: D3F30044 1D120D7E
	v_mfma_f32_16x16x32_fp8_fp8 v[72:75], a[128:129], a[0:1], v[72:75]// 000000006A40: D3F30048 1D220180
	buffer_load_dwordx4 a[40:43], v40, s[24:27], 0 offen       // 000000006A48: E05C1000 80862828
	v_mfma_f32_16x16x32_fp8_fp8 v[72:75], a[130:131], a[2:3], v[72:75]// 000000006A50: D3F30048 1D220582
	v_mfma_f32_16x16x32_fp8_fp8 v[72:75], a[132:133], a[4:5], v[72:75]// 000000006A58: D3F30048 1D220984
	v_mfma_f32_16x16x32_fp8_fp8 v[72:75], a[134:135], a[6:7], v[72:75]// 000000006A60: D3F30048 1D220D86
	v_mfma_f32_16x16x32_fp8_fp8 v[76:79], a[136:137], a[0:1], v[76:79]// 000000006A68: D3F3004C 1D320188
	buffer_load_dwordx4 a[44:47], v40, s[24:27], 0 offen offset:1024// 000000006A70: E05C1400 80862C28
	v_mfma_f32_16x16x32_fp8_fp8 v[76:79], a[138:139], a[2:3], v[76:79]// 000000006A78: D3F3004C 1D32058A
	v_mfma_f32_16x16x32_fp8_fp8 v[76:79], a[140:141], a[4:5], v[76:79]// 000000006A80: D3F3004C 1D32098C
	v_mfma_f32_16x16x32_fp8_fp8 v[76:79], a[142:143], a[6:7], v[76:79]// 000000006A88: D3F3004C 1D320D8E
	buffer_load_dwordx4 a[48:51], v41, s[24:27], 0 offen       // 000000006A90: E05C1000 80863029
	buffer_load_dwordx4 a[52:55], v41, s[24:27], 0 offen offset:1024// 000000006A98: E05C1400 80863429
	buffer_load_dwordx4 a[56:59], v42, s[24:27], 0 offen       // 000000006AA0: E05C1000 8086382A
	buffer_load_dwordx4 a[60:63], v42, s[24:27], 0 offen offset:1024// 000000006AA8: E05C1400 80863C2A
	buffer_load_dwordx4 a[64:67], v43, s[24:27], 0 offen       // 000000006AB0: E05C1000 8086402B
	buffer_load_dwordx4 a[68:71], v43, s[24:27], 0 offen offset:1024// 000000006AB8: E05C1400 8086442B
	buffer_load_dwordx4 a[72:75], v44, s[24:27], 0 offen       // 000000006AC0: E05C1000 8086482C
	buffer_load_dwordx4 a[76:79], v44, s[24:27], 0 offen offset:1024// 000000006AC8: E05C1400 80864C2C
	buffer_load_dword v35, s[20:23], 0 offen lds               // 000000006AD0: E0511000 80050023
	s_add_u32 m0, 0x100, s49                                   // 000000006AD8: 807C31FF 00000100
	buffer_load_dword v36, s[20:23], 0 offen lds               // 000000006AE0: E0511000 80050024
	s_add_u32 m0, 0, s50                                       // 000000006AE8: 807C3280
	s_waitcnt vmcnt(18)                                        // 000000006AEC: BF8C4F72
	s_barrier                                                  // 000000006AF0: BF8A0000
	v_mfma_f32_16x16x32_fp8_fp8 v[80:83], a[144:145], a[0:1], v[80:83]// 000000006AF4: D3F30050 1D420190
	buffer_load_dwordx4 a[80:83], v37, s[84:87], 0 offen       // 000000006AFC: E05C1000 80955025
	v_mfma_f32_16x16x32_fp8_fp8 v[80:83], a[146:147], a[2:3], v[80:83]// 000000006B04: D3F30050 1D420592
	v_mfma_f32_16x16x32_fp8_fp8 v[80:83], a[148:149], a[4:5], v[80:83]// 000000006B0C: D3F30050 1D420994
	ds_read_b128 a[8:11], v2                                   // 000000006B14: DBFE0000 08000002
	ds_read_b128 a[12:15], v2 offset:64                        // 000000006B1C: DBFE0040 0C000002
	v_mfma_f32_16x16x32_fp8_fp8 v[80:83], a[150:151], a[6:7], v[80:83]// 000000006B24: D3F30050 1D420D96
	v_mfma_f32_16x16x32_fp8_fp8 v[84:87], a[152:153], a[0:1], v[84:87]// 000000006B2C: D3F30054 1D520198
	buffer_load_dwordx4 a[84:87], v37, s[84:87], 0 offen offset:1024// 000000006B34: E05C1400 80955425
	v_mfma_f32_16x16x32_fp8_fp8 v[84:87], a[154:155], a[2:3], v[84:87]// 000000006B3C: D3F30054 1D52059A
	v_mfma_f32_16x16x32_fp8_fp8 v[84:87], a[156:157], a[4:5], v[84:87]// 000000006B44: D3F30054 1D52099C
	v_mfma_f32_16x16x32_fp8_fp8 v[84:87], a[158:159], a[6:7], v[84:87]// 000000006B4C: D3F30054 1D520D9E
	v_mfma_f32_16x16x32_fp8_fp8 v[88:91], a[160:161], a[0:1], v[88:91]// 000000006B54: D3F30058 1D6201A0
	buffer_load_dwordx4 a[88:91], v38, s[84:87], 0 offen       // 000000006B5C: E05C1000 80955826
	v_mfma_f32_16x16x32_fp8_fp8 v[88:91], a[162:163], a[2:3], v[88:91]// 000000006B64: D3F30058 1D6205A2
	v_mfma_f32_16x16x32_fp8_fp8 v[88:91], a[164:165], a[4:5], v[88:91]// 000000006B6C: D3F30058 1D6209A4
	v_mfma_f32_16x16x32_fp8_fp8 v[88:91], a[166:167], a[6:7], v[88:91]// 000000006B74: D3F30058 1D620DA6
	v_mfma_f32_16x16x32_fp8_fp8 v[92:95], a[168:169], a[0:1], v[92:95]// 000000006B7C: D3F3005C 1D7201A8
	buffer_load_dwordx4 a[92:95], v38, s[84:87], 0 offen offset:1024// 000000006B84: E05C1400 80955C26
	v_mfma_f32_16x16x32_fp8_fp8 v[92:95], a[170:171], a[2:3], v[92:95]// 000000006B8C: D3F3005C 1D7205AA
	v_mfma_f32_16x16x32_fp8_fp8 v[92:95], a[172:173], a[4:5], v[92:95]// 000000006B94: D3F3005C 1D7209AC
	v_mfma_f32_16x16x32_fp8_fp8 v[92:95], a[174:175], a[6:7], v[92:95]// 000000006B9C: D3F3005C 1D720DAE
	v_mfma_f32_16x16x32_fp8_fp8 v[96:99], a[176:177], a[0:1], v[96:99]// 000000006BA4: D3F30060 1D8201B0
	buffer_load_dwordx4 a[96:99], v39, s[84:87], 0 offen       // 000000006BAC: E05C1000 80956027
	v_mfma_f32_16x16x32_fp8_fp8 v[96:99], a[178:179], a[2:3], v[96:99]// 000000006BB4: D3F30060 1D8205B2
	v_mfma_f32_16x16x32_fp8_fp8 v[96:99], a[180:181], a[4:5], v[96:99]// 000000006BBC: D3F30060 1D8209B4
	v_mfma_f32_16x16x32_fp8_fp8 v[96:99], a[182:183], a[6:7], v[96:99]// 000000006BC4: D3F30060 1D820DB6
	v_mfma_f32_16x16x32_fp8_fp8 v[100:103], a[184:185], a[0:1], v[100:103]// 000000006BCC: D3F30064 1D9201B8
	buffer_load_dwordx4 a[100:103], v39, s[84:87], 0 offen offset:1024// 000000006BD4: E05C1400 80956427
	v_mfma_f32_16x16x32_fp8_fp8 v[100:103], a[186:187], a[2:3], v[100:103]// 000000006BDC: D3F30064 1D9205BA
	v_mfma_f32_16x16x32_fp8_fp8 v[100:103], a[188:189], a[4:5], v[100:103]// 000000006BE4: D3F30064 1D9209BC
	v_mfma_f32_16x16x32_fp8_fp8 v[100:103], a[190:191], a[6:7], v[100:103]// 000000006BEC: D3F30064 1D920DBE
	v_mfma_f32_16x16x32_fp8_fp8 v[104:107], a[192:193], a[0:1], v[104:107]// 000000006BF4: D3F30068 1DA201C0
	buffer_load_dwordx4 a[104:107], v40, s[84:87], 0 offen     // 000000006BFC: E05C1000 80956828
	s_add_u32 s60, 0x180, s80                                  // 000000006C04: 803C50FF 00000180
	s_cmp_lt_u32 s60, s81                                      // 000000006C0C: BF0A513C
	s_cselect_b32 s57, s57, 0                                  // 000000006C10: 85398039
	v_mfma_f32_16x16x32_fp8_fp8 v[104:107], a[194:195], a[2:3], v[104:107]// 000000006C14: D3F30068 1DA205C2
	s_add_u32 s60, 0x100, s80                                  // 000000006C1C: 803C50FF 00000100
	s_cmp_lt_u32 s60, s81                                      // 000000006C24: BF0A513C
	s_cselect_b32 s58, s58, 0                                  // 000000006C28: 853A803A
	v_mfma_f32_16x16x32_fp8_fp8 v[104:107], a[196:197], a[4:5], v[104:107]// 000000006C2C: D3F30068 1DA209C4
	s_add_u32 s60, 0x100, s80                                  // 000000006C34: 803C50FF 00000100
	s_cmp_lt_u32 s60, s81                                      // 000000006C3C: BF0A513C
	s_cselect_b32 s83, s83, 0                                  // 000000006C40: 85538053
	v_mfma_f32_16x16x32_fp8_fp8 v[104:107], a[198:199], a[6:7], v[104:107]// 000000006C44: D3F30068 1DA20DC6
	s_add_u32 s24, s58, s24                                    // 000000006C4C: 8018183A
	s_addc_u32 s25, 0, s25                                     // 000000006C50: 82191980
	v_mfma_f32_16x16x32_fp8_fp8 v[108:111], a[200:201], a[0:1], v[108:111]// 000000006C54: D3F3006C 1DB201C8
	buffer_load_dwordx4 a[108:111], v40, s[84:87], 0 offen offset:1024// 000000006C5C: E05C1400 80956C28
	s_add_u32 s20, s57, s20                                    // 000000006C64: 80141439
	s_addc_u32 s21, 0, s21                                     // 000000006C68: 82151580
	v_mfma_f32_16x16x32_fp8_fp8 v[108:111], a[202:203], a[2:3], v[108:111]// 000000006C6C: D3F3006C 1DB205CA
	v_mfma_f32_16x16x32_fp8_fp8 v[108:111], a[204:205], a[4:5], v[108:111]// 000000006C74: D3F3006C 1DB209CC
	v_mfma_f32_16x16x32_fp8_fp8 v[108:111], a[206:207], a[6:7], v[108:111]// 000000006C7C: D3F3006C 1DB20DCE
	buffer_load_dwordx4 a[112:115], v41, s[84:87], 0 offen     // 000000006C84: E05C1000 80957029
	buffer_load_dwordx4 a[116:119], v41, s[84:87], 0 offen offset:1024// 000000006C8C: E05C1400 80957429
	buffer_load_dwordx4 a[120:123], v42, s[84:87], 0 offen     // 000000006C94: E05C1000 8095782A
	buffer_load_dwordx4 a[124:127], v42, s[84:87], 0 offen offset:1024// 000000006C9C: E05C1400 80957C2A
	buffer_load_dwordx4 a[128:131], v43, s[84:87], 0 offen     // 000000006CA4: E05C1000 8095802B
	buffer_load_dwordx4 a[132:135], v43, s[84:87], 0 offen offset:1024// 000000006CAC: E05C1400 8095842B
	buffer_load_dwordx4 a[136:139], v44, s[84:87], 0 offen     // 000000006CB4: E05C1000 8095882C
	buffer_load_dwordx4 a[140:143], v44, s[84:87], 0 offen offset:1024// 000000006CBC: E05C1400 80958C2C
	s_add_u32 s84, s83, s84                                    // 000000006CC4: 80545453
	s_addc_u32 s85, 0, s85                                     // 000000006CC8: 82555580
	s_addk_i32 s80, 0x80                                       // 000000006CCC: B7500080
	s_cmp_lt_i32 s80, s81                                      // 000000006CD0: BF045150
	s_cbranch_scc0 label_1363                                  // 000000006CD4: BF8402AA
	s_waitcnt vmcnt(18) lgkmcnt(0)                             // 000000006CD8: BF8C4072
	v_mfma_f32_16x16x32_fp8_fp8 v[48:51], a[16:17], a[8:9], v[48:51]// 000000006CDC: D3F30030 1CC21110
	buffer_load_dwordx4 a[144:147], v37, s[24:27], 0 offen     // 000000006CE4: E05C1000 80869025
	v_mfma_f32_16x16x32_fp8_fp8 v[48:51], a[18:19], a[10:11], v[48:51]// 000000006CEC: D3F30030 1CC21512
	v_mfma_f32_16x16x32_fp8_fp8 v[48:51], a[20:21], a[12:13], v[48:51]// 000000006CF4: D3F30030 1CC21914
	v_mfma_f32_16x16x32_fp8_fp8 v[48:51], a[22:23], a[14:15], v[48:51]// 000000006CFC: D3F30030 1CC21D16
	v_mfma_f32_16x16x32_fp8_fp8 v[52:55], a[24:25], a[8:9], v[52:55]// 000000006D04: D3F30034 1CD21118
	buffer_load_dwordx4 a[148:151], v37, s[24:27], 0 offen offset:1024// 000000006D0C: E05C1400 80869425
	v_mfma_f32_16x16x32_fp8_fp8 v[52:55], a[26:27], a[10:11], v[52:55]// 000000006D14: D3F30034 1CD2151A
	v_mfma_f32_16x16x32_fp8_fp8 v[52:55], a[28:29], a[12:13], v[52:55]// 000000006D1C: D3F30034 1CD2191C
	v_mfma_f32_16x16x32_fp8_fp8 v[52:55], a[30:31], a[14:15], v[52:55]// 000000006D24: D3F30034 1CD21D1E
	v_mfma_f32_16x16x32_fp8_fp8 v[56:59], a[32:33], a[8:9], v[56:59]// 000000006D2C: D3F30038 1CE21120
	buffer_load_dwordx4 a[152:155], v38, s[24:27], 0 offen     // 000000006D34: E05C1000 80869826
	v_mfma_f32_16x16x32_fp8_fp8 v[56:59], a[34:35], a[10:11], v[56:59]// 000000006D3C: D3F30038 1CE21522
	v_mfma_f32_16x16x32_fp8_fp8 v[56:59], a[36:37], a[12:13], v[56:59]// 000000006D44: D3F30038 1CE21924
	v_mfma_f32_16x16x32_fp8_fp8 v[56:59], a[38:39], a[14:15], v[56:59]// 000000006D4C: D3F30038 1CE21D26
	v_mfma_f32_16x16x32_fp8_fp8 v[60:63], a[40:41], a[8:9], v[60:63]// 000000006D54: D3F3003C 1CF21128
	buffer_load_dwordx4 a[156:159], v38, s[24:27], 0 offen offset:1024// 000000006D5C: E05C1400 80869C26
	v_mfma_f32_16x16x32_fp8_fp8 v[60:63], a[42:43], a[10:11], v[60:63]// 000000006D64: D3F3003C 1CF2152A
	v_mfma_f32_16x16x32_fp8_fp8 v[60:63], a[44:45], a[12:13], v[60:63]// 000000006D6C: D3F3003C 1CF2192C
	v_mfma_f32_16x16x32_fp8_fp8 v[60:63], a[46:47], a[14:15], v[60:63]// 000000006D74: D3F3003C 1CF21D2E
	v_mfma_f32_16x16x32_fp8_fp8 v[64:67], a[48:49], a[8:9], v[64:67]// 000000006D7C: D3F30040 1D021130
	buffer_load_dwordx4 a[160:163], v39, s[24:27], 0 offen     // 000000006D84: E05C1000 8086A027
	v_mfma_f32_16x16x32_fp8_fp8 v[64:67], a[50:51], a[10:11], v[64:67]// 000000006D8C: D3F30040 1D021532
	v_mfma_f32_16x16x32_fp8_fp8 v[64:67], a[52:53], a[12:13], v[64:67]// 000000006D94: D3F30040 1D021934
	v_mfma_f32_16x16x32_fp8_fp8 v[64:67], a[54:55], a[14:15], v[64:67]// 000000006D9C: D3F30040 1D021D36
	v_mfma_f32_16x16x32_fp8_fp8 v[68:71], a[56:57], a[8:9], v[68:71]// 000000006DA4: D3F30044 1D121138
	buffer_load_dwordx4 a[164:167], v39, s[24:27], 0 offen offset:1024// 000000006DAC: E05C1400 8086A427
	v_mfma_f32_16x16x32_fp8_fp8 v[68:71], a[58:59], a[10:11], v[68:71]// 000000006DB4: D3F30044 1D12153A
	v_mfma_f32_16x16x32_fp8_fp8 v[68:71], a[60:61], a[12:13], v[68:71]// 000000006DBC: D3F30044 1D12193C
	v_mfma_f32_16x16x32_fp8_fp8 v[68:71], a[62:63], a[14:15], v[68:71]// 000000006DC4: D3F30044 1D121D3E
	v_mfma_f32_16x16x32_fp8_fp8 v[72:75], a[64:65], a[8:9], v[72:75]// 000000006DCC: D3F30048 1D221140
	buffer_load_dwordx4 a[168:171], v40, s[24:27], 0 offen     // 000000006DD4: E05C1000 8086A828
	v_mfma_f32_16x16x32_fp8_fp8 v[72:75], a[66:67], a[10:11], v[72:75]// 000000006DDC: D3F30048 1D221542
	v_mfma_f32_16x16x32_fp8_fp8 v[72:75], a[68:69], a[12:13], v[72:75]// 000000006DE4: D3F30048 1D221944
	v_mfma_f32_16x16x32_fp8_fp8 v[72:75], a[70:71], a[14:15], v[72:75]// 000000006DEC: D3F30048 1D221D46
	v_mfma_f32_16x16x32_fp8_fp8 v[76:79], a[72:73], a[8:9], v[76:79]// 000000006DF4: D3F3004C 1D321148
	buffer_load_dwordx4 a[172:175], v40, s[24:27], 0 offen offset:1024// 000000006DFC: E05C1400 8086AC28
	v_mfma_f32_16x16x32_fp8_fp8 v[76:79], a[74:75], a[10:11], v[76:79]// 000000006E04: D3F3004C 1D32154A
	v_mfma_f32_16x16x32_fp8_fp8 v[76:79], a[76:77], a[12:13], v[76:79]// 000000006E0C: D3F3004C 1D32194C
	v_mfma_f32_16x16x32_fp8_fp8 v[76:79], a[78:79], a[14:15], v[76:79]// 000000006E14: D3F3004C 1D321D4E
	buffer_load_dwordx4 a[176:179], v41, s[24:27], 0 offen     // 000000006E1C: E05C1000 8086B029
	buffer_load_dwordx4 a[180:183], v41, s[24:27], 0 offen offset:1024// 000000006E24: E05C1400 8086B429
	buffer_load_dwordx4 a[184:187], v42, s[24:27], 0 offen     // 000000006E2C: E05C1000 8086B82A
	buffer_load_dwordx4 a[188:191], v42, s[24:27], 0 offen offset:1024// 000000006E34: E05C1400 8086BC2A
	buffer_load_dwordx4 a[192:195], v43, s[24:27], 0 offen     // 000000006E3C: E05C1000 8086C02B
	buffer_load_dwordx4 a[196:199], v43, s[24:27], 0 offen offset:1024// 000000006E44: E05C1400 8086C42B
	buffer_load_dwordx4 a[200:203], v44, s[24:27], 0 offen     // 000000006E4C: E05C1000 8086C82C
	buffer_load_dwordx4 a[204:207], v44, s[24:27], 0 offen offset:1024// 000000006E54: E05C1400 8086CC2C
	buffer_load_dword v35, s[20:23], 0 offen lds               // 000000006E5C: E0511000 80050023
	s_add_u32 m0, 0x100, s50                                   // 000000006E64: 807C32FF 00000100
	buffer_load_dword v36, s[20:23], 0 offen lds               // 000000006E6C: E0511000 80050024
	s_add_u32 m0, 0, s48                                       // 000000006E74: 807C3080
	s_waitcnt vmcnt(18)                                        // 000000006E78: BF8C4F72
	s_barrier                                                  // 000000006E7C: BF8A0000
	v_mfma_f32_16x16x32_fp8_fp8 v[80:83], a[80:81], a[8:9], v[80:83]// 000000006E80: D3F30050 1D421150
	buffer_load_dwordx4 a[16:19], v37, s[84:87], 0 offen       // 000000006E88: E05C1000 80951025
	v_mfma_f32_16x16x32_fp8_fp8 v[80:83], a[82:83], a[10:11], v[80:83]// 000000006E90: D3F30050 1D421552
	v_mfma_f32_16x16x32_fp8_fp8 v[80:83], a[84:85], a[12:13], v[80:83]// 000000006E98: D3F30050 1D421954
	ds_read_b128 a[0:3], v2 offset:2176                        // 000000006EA0: DBFE0880 00000002
	ds_read_b128 a[4:7], v2 offset:2240                        // 000000006EA8: DBFE08C0 04000002
	v_mfma_f32_16x16x32_fp8_fp8 v[80:83], a[86:87], a[14:15], v[80:83]// 000000006EB0: D3F30050 1D421D56
	v_mfma_f32_16x16x32_fp8_fp8 v[84:87], a[88:89], a[8:9], v[84:87]// 000000006EB8: D3F30054 1D521158
	buffer_load_dwordx4 a[20:23], v37, s[84:87], 0 offen offset:1024// 000000006EC0: E05C1400 80951425
	v_mfma_f32_16x16x32_fp8_fp8 v[84:87], a[90:91], a[10:11], v[84:87]// 000000006EC8: D3F30054 1D52155A
	v_mfma_f32_16x16x32_fp8_fp8 v[84:87], a[92:93], a[12:13], v[84:87]// 000000006ED0: D3F30054 1D52195C
	v_mfma_f32_16x16x32_fp8_fp8 v[84:87], a[94:95], a[14:15], v[84:87]// 000000006ED8: D3F30054 1D521D5E
	v_mfma_f32_16x16x32_fp8_fp8 v[88:91], a[96:97], a[8:9], v[88:91]// 000000006EE0: D3F30058 1D621160
	buffer_load_dwordx4 a[24:27], v38, s[84:87], 0 offen       // 000000006EE8: E05C1000 80951826
	v_mfma_f32_16x16x32_fp8_fp8 v[88:91], a[98:99], a[10:11], v[88:91]// 000000006EF0: D3F30058 1D621562
	v_mfma_f32_16x16x32_fp8_fp8 v[88:91], a[100:101], a[12:13], v[88:91]// 000000006EF8: D3F30058 1D621964
	v_mfma_f32_16x16x32_fp8_fp8 v[88:91], a[102:103], a[14:15], v[88:91]// 000000006F00: D3F30058 1D621D66
	v_mfma_f32_16x16x32_fp8_fp8 v[92:95], a[104:105], a[8:9], v[92:95]// 000000006F08: D3F3005C 1D721168
	buffer_load_dwordx4 a[28:31], v38, s[84:87], 0 offen offset:1024// 000000006F10: E05C1400 80951C26
	v_mfma_f32_16x16x32_fp8_fp8 v[92:95], a[106:107], a[10:11], v[92:95]// 000000006F18: D3F3005C 1D72156A
	v_mfma_f32_16x16x32_fp8_fp8 v[92:95], a[108:109], a[12:13], v[92:95]// 000000006F20: D3F3005C 1D72196C
	v_mfma_f32_16x16x32_fp8_fp8 v[92:95], a[110:111], a[14:15], v[92:95]// 000000006F28: D3F3005C 1D721D6E
	v_mfma_f32_16x16x32_fp8_fp8 v[96:99], a[112:113], a[8:9], v[96:99]// 000000006F30: D3F30060 1D821170
	buffer_load_dwordx4 a[32:35], v39, s[84:87], 0 offen       // 000000006F38: E05C1000 80952027
	v_mfma_f32_16x16x32_fp8_fp8 v[96:99], a[114:115], a[10:11], v[96:99]// 000000006F40: D3F30060 1D821572
	v_mfma_f32_16x16x32_fp8_fp8 v[96:99], a[116:117], a[12:13], v[96:99]// 000000006F48: D3F30060 1D821974
	v_mfma_f32_16x16x32_fp8_fp8 v[96:99], a[118:119], a[14:15], v[96:99]// 000000006F50: D3F30060 1D821D76
	v_mfma_f32_16x16x32_fp8_fp8 v[100:103], a[120:121], a[8:9], v[100:103]// 000000006F58: D3F30064 1D921178
	buffer_load_dwordx4 a[36:39], v39, s[84:87], 0 offen offset:1024// 000000006F60: E05C1400 80952427
	v_mfma_f32_16x16x32_fp8_fp8 v[100:103], a[122:123], a[10:11], v[100:103]// 000000006F68: D3F30064 1D92157A
	v_mfma_f32_16x16x32_fp8_fp8 v[100:103], a[124:125], a[12:13], v[100:103]// 000000006F70: D3F30064 1D92197C
	v_mfma_f32_16x16x32_fp8_fp8 v[100:103], a[126:127], a[14:15], v[100:103]// 000000006F78: D3F30064 1D921D7E
	v_mfma_f32_16x16x32_fp8_fp8 v[104:107], a[128:129], a[8:9], v[104:107]// 000000006F80: D3F30068 1DA21180
	buffer_load_dwordx4 a[40:43], v40, s[84:87], 0 offen       // 000000006F88: E05C1000 80952828
	s_add_u32 s60, 0x180, s80                                  // 000000006F90: 803C50FF 00000180
	s_cmp_lt_u32 s60, s81                                      // 000000006F98: BF0A513C
	s_cselect_b32 s57, s57, 0                                  // 000000006F9C: 85398039
	v_mfma_f32_16x16x32_fp8_fp8 v[104:107], a[130:131], a[10:11], v[104:107]// 000000006FA0: D3F30068 1DA21582
	s_add_u32 s60, 0x100, s80                                  // 000000006FA8: 803C50FF 00000100
	s_cmp_lt_u32 s60, s81                                      // 000000006FB0: BF0A513C
	s_cselect_b32 s58, s58, 0                                  // 000000006FB4: 853A803A
	v_mfma_f32_16x16x32_fp8_fp8 v[104:107], a[132:133], a[12:13], v[104:107]// 000000006FB8: D3F30068 1DA21984
	s_add_u32 s60, 0x100, s80                                  // 000000006FC0: 803C50FF 00000100
	s_cmp_lt_u32 s60, s81                                      // 000000006FC8: BF0A513C
	s_cselect_b32 s83, s83, 0                                  // 000000006FCC: 85538053
	v_mfma_f32_16x16x32_fp8_fp8 v[104:107], a[134:135], a[14:15], v[104:107]// 000000006FD0: D3F30068 1DA21D86
	s_add_u32 s24, s58, s24                                    // 000000006FD8: 8018183A
	s_addc_u32 s25, 0, s25                                     // 000000006FDC: 82191980
	v_mfma_f32_16x16x32_fp8_fp8 v[108:111], a[136:137], a[8:9], v[108:111]// 000000006FE0: D3F3006C 1DB21188
	buffer_load_dwordx4 a[44:47], v40, s[84:87], 0 offen offset:1024// 000000006FE8: E05C1400 80952C28
	s_add_u32 s20, s57, s20                                    // 000000006FF0: 80141439
	s_addc_u32 s21, 0, s21                                     // 000000006FF4: 82151580
	v_mfma_f32_16x16x32_fp8_fp8 v[108:111], a[138:139], a[10:11], v[108:111]// 000000006FF8: D3F3006C 1DB2158A
	v_mfma_f32_16x16x32_fp8_fp8 v[108:111], a[140:141], a[12:13], v[108:111]// 000000007000: D3F3006C 1DB2198C
	v_mfma_f32_16x16x32_fp8_fp8 v[108:111], a[142:143], a[14:15], v[108:111]// 000000007008: D3F3006C 1DB21D8E
	buffer_load_dwordx4 a[48:51], v41, s[84:87], 0 offen       // 000000007010: E05C1000 80953029
	buffer_load_dwordx4 a[52:55], v41, s[84:87], 0 offen offset:1024// 000000007018: E05C1400 80953429
	buffer_load_dwordx4 a[56:59], v42, s[84:87], 0 offen       // 000000007020: E05C1000 8095382A
	buffer_load_dwordx4 a[60:63], v42, s[84:87], 0 offen offset:1024// 000000007028: E05C1400 80953C2A
	buffer_load_dwordx4 a[64:67], v43, s[84:87], 0 offen       // 000000007030: E05C1000 8095402B
	buffer_load_dwordx4 a[68:71], v43, s[84:87], 0 offen offset:1024// 000000007038: E05C1400 8095442B
	buffer_load_dwordx4 a[72:75], v44, s[84:87], 0 offen       // 000000007040: E05C1000 8095482C
	buffer_load_dwordx4 a[76:79], v44, s[84:87], 0 offen offset:1024// 000000007048: E05C1400 80954C2C
	s_add_u32 s84, s83, s84                                    // 000000007050: 80545453
	s_addc_u32 s85, 0, s85                                     // 000000007054: 82555580
	s_addk_i32 s80, 0x80                                       // 000000007058: B7500080
	s_cmp_lt_i32 s80, s81                                      // 00000000705C: BF045150
	s_cbranch_scc0 label_1363                                  // 000000007060: BF8401C7
	s_waitcnt vmcnt(18) lgkmcnt(0)                             // 000000007064: BF8C4072
	v_mfma_f32_16x16x32_fp8_fp8 v[48:51], a[144:145], a[0:1], v[48:51]// 000000007068: D3F30030 1CC20190
	buffer_load_dwordx4 a[80:83], v37, s[24:27], 0 offen       // 000000007070: E05C1000 80865025
	v_mfma_f32_16x16x32_fp8_fp8 v[48:51], a[146:147], a[2:3], v[48:51]// 000000007078: D3F30030 1CC20592
	v_mfma_f32_16x16x32_fp8_fp8 v[48:51], a[148:149], a[4:5], v[48:51]// 000000007080: D3F30030 1CC20994
	v_mfma_f32_16x16x32_fp8_fp8 v[48:51], a[150:151], a[6:7], v[48:51]// 000000007088: D3F30030 1CC20D96
	v_mfma_f32_16x16x32_fp8_fp8 v[52:55], a[152:153], a[0:1], v[52:55]// 000000007090: D3F30034 1CD20198
	buffer_load_dwordx4 a[84:87], v37, s[24:27], 0 offen offset:1024// 000000007098: E05C1400 80865425
	v_mfma_f32_16x16x32_fp8_fp8 v[52:55], a[154:155], a[2:3], v[52:55]// 0000000070A0: D3F30034 1CD2059A
	v_mfma_f32_16x16x32_fp8_fp8 v[52:55], a[156:157], a[4:5], v[52:55]// 0000000070A8: D3F30034 1CD2099C
	v_mfma_f32_16x16x32_fp8_fp8 v[52:55], a[158:159], a[6:7], v[52:55]// 0000000070B0: D3F30034 1CD20D9E
	v_mfma_f32_16x16x32_fp8_fp8 v[56:59], a[160:161], a[0:1], v[56:59]// 0000000070B8: D3F30038 1CE201A0
	buffer_load_dwordx4 a[88:91], v38, s[24:27], 0 offen       // 0000000070C0: E05C1000 80865826
	v_mfma_f32_16x16x32_fp8_fp8 v[56:59], a[162:163], a[2:3], v[56:59]// 0000000070C8: D3F30038 1CE205A2
	v_mfma_f32_16x16x32_fp8_fp8 v[56:59], a[164:165], a[4:5], v[56:59]// 0000000070D0: D3F30038 1CE209A4
	v_mfma_f32_16x16x32_fp8_fp8 v[56:59], a[166:167], a[6:7], v[56:59]// 0000000070D8: D3F30038 1CE20DA6
	v_mfma_f32_16x16x32_fp8_fp8 v[60:63], a[168:169], a[0:1], v[60:63]// 0000000070E0: D3F3003C 1CF201A8
	buffer_load_dwordx4 a[92:95], v38, s[24:27], 0 offen offset:1024// 0000000070E8: E05C1400 80865C26
	v_mfma_f32_16x16x32_fp8_fp8 v[60:63], a[170:171], a[2:3], v[60:63]// 0000000070F0: D3F3003C 1CF205AA
	v_mfma_f32_16x16x32_fp8_fp8 v[60:63], a[172:173], a[4:5], v[60:63]// 0000000070F8: D3F3003C 1CF209AC
	v_mfma_f32_16x16x32_fp8_fp8 v[60:63], a[174:175], a[6:7], v[60:63]// 000000007100: D3F3003C 1CF20DAE
	v_mfma_f32_16x16x32_fp8_fp8 v[64:67], a[176:177], a[0:1], v[64:67]// 000000007108: D3F30040 1D0201B0
	buffer_load_dwordx4 a[96:99], v39, s[24:27], 0 offen       // 000000007110: E05C1000 80866027
	v_mfma_f32_16x16x32_fp8_fp8 v[64:67], a[178:179], a[2:3], v[64:67]// 000000007118: D3F30040 1D0205B2
	v_mfma_f32_16x16x32_fp8_fp8 v[64:67], a[180:181], a[4:5], v[64:67]// 000000007120: D3F30040 1D0209B4
	v_mfma_f32_16x16x32_fp8_fp8 v[64:67], a[182:183], a[6:7], v[64:67]// 000000007128: D3F30040 1D020DB6
	v_mfma_f32_16x16x32_fp8_fp8 v[68:71], a[184:185], a[0:1], v[68:71]// 000000007130: D3F30044 1D1201B8
	buffer_load_dwordx4 a[100:103], v39, s[24:27], 0 offen offset:1024// 000000007138: E05C1400 80866427
	v_mfma_f32_16x16x32_fp8_fp8 v[68:71], a[186:187], a[2:3], v[68:71]// 000000007140: D3F30044 1D1205BA
	v_mfma_f32_16x16x32_fp8_fp8 v[68:71], a[188:189], a[4:5], v[68:71]// 000000007148: D3F30044 1D1209BC
	v_mfma_f32_16x16x32_fp8_fp8 v[68:71], a[190:191], a[6:7], v[68:71]// 000000007150: D3F30044 1D120DBE
	v_mfma_f32_16x16x32_fp8_fp8 v[72:75], a[192:193], a[0:1], v[72:75]// 000000007158: D3F30048 1D2201C0
	buffer_load_dwordx4 a[104:107], v40, s[24:27], 0 offen     // 000000007160: E05C1000 80866828
	v_mfma_f32_16x16x32_fp8_fp8 v[72:75], a[194:195], a[2:3], v[72:75]// 000000007168: D3F30048 1D2205C2
	v_mfma_f32_16x16x32_fp8_fp8 v[72:75], a[196:197], a[4:5], v[72:75]// 000000007170: D3F30048 1D2209C4
	v_mfma_f32_16x16x32_fp8_fp8 v[72:75], a[198:199], a[6:7], v[72:75]// 000000007178: D3F30048 1D220DC6
	v_mfma_f32_16x16x32_fp8_fp8 v[76:79], a[200:201], a[0:1], v[76:79]// 000000007180: D3F3004C 1D3201C8
	buffer_load_dwordx4 a[108:111], v40, s[24:27], 0 offen offset:1024// 000000007188: E05C1400 80866C28
	v_mfma_f32_16x16x32_fp8_fp8 v[76:79], a[202:203], a[2:3], v[76:79]// 000000007190: D3F3004C 1D3205CA
	v_mfma_f32_16x16x32_fp8_fp8 v[76:79], a[204:205], a[4:5], v[76:79]// 000000007198: D3F3004C 1D3209CC
	v_mfma_f32_16x16x32_fp8_fp8 v[76:79], a[206:207], a[6:7], v[76:79]// 0000000071A0: D3F3004C 1D320DCE
	buffer_load_dwordx4 a[112:115], v41, s[24:27], 0 offen     // 0000000071A8: E05C1000 80867029
	buffer_load_dwordx4 a[116:119], v41, s[24:27], 0 offen offset:1024// 0000000071B0: E05C1400 80867429
	buffer_load_dwordx4 a[120:123], v42, s[24:27], 0 offen     // 0000000071B8: E05C1000 8086782A
	buffer_load_dwordx4 a[124:127], v42, s[24:27], 0 offen offset:1024// 0000000071C0: E05C1400 80867C2A
	buffer_load_dwordx4 a[128:131], v43, s[24:27], 0 offen     // 0000000071C8: E05C1000 8086802B
	buffer_load_dwordx4 a[132:135], v43, s[24:27], 0 offen offset:1024// 0000000071D0: E05C1400 8086842B
	buffer_load_dwordx4 a[136:139], v44, s[24:27], 0 offen     // 0000000071D8: E05C1000 8086882C
	buffer_load_dwordx4 a[140:143], v44, s[24:27], 0 offen offset:1024// 0000000071E0: E05C1400 80868C2C
	buffer_load_dword v35, s[20:23], 0 offen lds               // 0000000071E8: E0511000 80050023
	s_add_u32 m0, 0x100, s48                                   // 0000000071F0: 807C30FF 00000100
	buffer_load_dword v36, s[20:23], 0 offen lds               // 0000000071F8: E0511000 80050024
	s_add_u32 m0, 0, s49                                       // 000000007200: 807C3180
	s_waitcnt vmcnt(18)                                        // 000000007204: BF8C4F72
	s_barrier                                                  // 000000007208: BF8A0000
	v_mfma_f32_16x16x32_fp8_fp8 v[80:83], a[16:17], a[0:1], v[80:83]// 00000000720C: D3F30050 1D420110
	buffer_load_dwordx4 a[144:147], v37, s[84:87], 0 offen     // 000000007214: E05C1000 80959025
	v_mfma_f32_16x16x32_fp8_fp8 v[80:83], a[18:19], a[2:3], v[80:83]// 00000000721C: D3F30050 1D420512
	v_mfma_f32_16x16x32_fp8_fp8 v[80:83], a[20:21], a[4:5], v[80:83]// 000000007224: D3F30050 1D420914
	ds_read_b128 a[8:11], v2 offset:4352                       // 00000000722C: DBFE1100 08000002
	ds_read_b128 a[12:15], v2 offset:4416                      // 000000007234: DBFE1140 0C000002
	v_mfma_f32_16x16x32_fp8_fp8 v[80:83], a[22:23], a[6:7], v[80:83]// 00000000723C: D3F30050 1D420D16
	v_mfma_f32_16x16x32_fp8_fp8 v[84:87], a[24:25], a[0:1], v[84:87]// 000000007244: D3F30054 1D520118
	buffer_load_dwordx4 a[148:151], v37, s[84:87], 0 offen offset:1024// 00000000724C: E05C1400 80959425
	v_mfma_f32_16x16x32_fp8_fp8 v[84:87], a[26:27], a[2:3], v[84:87]// 000000007254: D3F30054 1D52051A
	v_mfma_f32_16x16x32_fp8_fp8 v[84:87], a[28:29], a[4:5], v[84:87]// 00000000725C: D3F30054 1D52091C
	v_mfma_f32_16x16x32_fp8_fp8 v[84:87], a[30:31], a[6:7], v[84:87]// 000000007264: D3F30054 1D520D1E
	v_mfma_f32_16x16x32_fp8_fp8 v[88:91], a[32:33], a[0:1], v[88:91]// 00000000726C: D3F30058 1D620120
	buffer_load_dwordx4 a[152:155], v38, s[84:87], 0 offen     // 000000007274: E05C1000 80959826
	v_mfma_f32_16x16x32_fp8_fp8 v[88:91], a[34:35], a[2:3], v[88:91]// 00000000727C: D3F30058 1D620522
	v_mfma_f32_16x16x32_fp8_fp8 v[88:91], a[36:37], a[4:5], v[88:91]// 000000007284: D3F30058 1D620924
	v_mfma_f32_16x16x32_fp8_fp8 v[88:91], a[38:39], a[6:7], v[88:91]// 00000000728C: D3F30058 1D620D26
	v_mfma_f32_16x16x32_fp8_fp8 v[92:95], a[40:41], a[0:1], v[92:95]// 000000007294: D3F3005C 1D720128
	buffer_load_dwordx4 a[156:159], v38, s[84:87], 0 offen offset:1024// 00000000729C: E05C1400 80959C26
	v_mfma_f32_16x16x32_fp8_fp8 v[92:95], a[42:43], a[2:3], v[92:95]// 0000000072A4: D3F3005C 1D72052A
	v_mfma_f32_16x16x32_fp8_fp8 v[92:95], a[44:45], a[4:5], v[92:95]// 0000000072AC: D3F3005C 1D72092C
	v_mfma_f32_16x16x32_fp8_fp8 v[92:95], a[46:47], a[6:7], v[92:95]// 0000000072B4: D3F3005C 1D720D2E
	v_mfma_f32_16x16x32_fp8_fp8 v[96:99], a[48:49], a[0:1], v[96:99]// 0000000072BC: D3F30060 1D820130
	buffer_load_dwordx4 a[160:163], v39, s[84:87], 0 offen     // 0000000072C4: E05C1000 8095A027
	v_mfma_f32_16x16x32_fp8_fp8 v[96:99], a[50:51], a[2:3], v[96:99]// 0000000072CC: D3F30060 1D820532
	v_mfma_f32_16x16x32_fp8_fp8 v[96:99], a[52:53], a[4:5], v[96:99]// 0000000072D4: D3F30060 1D820934
	v_mfma_f32_16x16x32_fp8_fp8 v[96:99], a[54:55], a[6:7], v[96:99]// 0000000072DC: D3F30060 1D820D36
	v_mfma_f32_16x16x32_fp8_fp8 v[100:103], a[56:57], a[0:1], v[100:103]// 0000000072E4: D3F30064 1D920138
	buffer_load_dwordx4 a[164:167], v39, s[84:87], 0 offen offset:1024// 0000000072EC: E05C1400 8095A427
	v_mfma_f32_16x16x32_fp8_fp8 v[100:103], a[58:59], a[2:3], v[100:103]// 0000000072F4: D3F30064 1D92053A
	v_mfma_f32_16x16x32_fp8_fp8 v[100:103], a[60:61], a[4:5], v[100:103]// 0000000072FC: D3F30064 1D92093C
	v_mfma_f32_16x16x32_fp8_fp8 v[100:103], a[62:63], a[6:7], v[100:103]// 000000007304: D3F30064 1D920D3E
	v_mfma_f32_16x16x32_fp8_fp8 v[104:107], a[64:65], a[0:1], v[104:107]// 00000000730C: D3F30068 1DA20140
	buffer_load_dwordx4 a[168:171], v40, s[84:87], 0 offen     // 000000007314: E05C1000 8095A828
	s_add_u32 s60, 0x180, s80                                  // 00000000731C: 803C50FF 00000180
	s_cmp_lt_u32 s60, s81                                      // 000000007324: BF0A513C
	s_cselect_b32 s57, s57, 0                                  // 000000007328: 85398039
	v_mfma_f32_16x16x32_fp8_fp8 v[104:107], a[66:67], a[2:3], v[104:107]// 00000000732C: D3F30068 1DA20542
	s_add_u32 s60, 0x100, s80                                  // 000000007334: 803C50FF 00000100
	s_cmp_lt_u32 s60, s81                                      // 00000000733C: BF0A513C
	s_cselect_b32 s58, s58, 0                                  // 000000007340: 853A803A
	v_mfma_f32_16x16x32_fp8_fp8 v[104:107], a[68:69], a[4:5], v[104:107]// 000000007344: D3F30068 1DA20944
	s_add_u32 s60, 0x100, s80                                  // 00000000734C: 803C50FF 00000100
	s_cmp_lt_u32 s60, s81                                      // 000000007354: BF0A513C
	s_cselect_b32 s83, s83, 0                                  // 000000007358: 85538053
	v_mfma_f32_16x16x32_fp8_fp8 v[104:107], a[70:71], a[6:7], v[104:107]// 00000000735C: D3F30068 1DA20D46
	s_add_u32 s24, s58, s24                                    // 000000007364: 8018183A
	s_addc_u32 s25, 0, s25                                     // 000000007368: 82191980
	v_mfma_f32_16x16x32_fp8_fp8 v[108:111], a[72:73], a[0:1], v[108:111]// 00000000736C: D3F3006C 1DB20148
	buffer_load_dwordx4 a[172:175], v40, s[84:87], 0 offen offset:1024// 000000007374: E05C1400 8095AC28
	s_add_u32 s20, s57, s20                                    // 00000000737C: 80141439
	s_addc_u32 s21, 0, s21                                     // 000000007380: 82151580
	v_mfma_f32_16x16x32_fp8_fp8 v[108:111], a[74:75], a[2:3], v[108:111]// 000000007384: D3F3006C 1DB2054A
	v_mfma_f32_16x16x32_fp8_fp8 v[108:111], a[76:77], a[4:5], v[108:111]// 00000000738C: D3F3006C 1DB2094C
	v_mfma_f32_16x16x32_fp8_fp8 v[108:111], a[78:79], a[6:7], v[108:111]// 000000007394: D3F3006C 1DB20D4E
	buffer_load_dwordx4 a[176:179], v41, s[84:87], 0 offen     // 00000000739C: E05C1000 8095B029
	buffer_load_dwordx4 a[180:183], v41, s[84:87], 0 offen offset:1024// 0000000073A4: E05C1400 8095B429
	buffer_load_dwordx4 a[184:187], v42, s[84:87], 0 offen     // 0000000073AC: E05C1000 8095B82A
	buffer_load_dwordx4 a[188:191], v42, s[84:87], 0 offen offset:1024// 0000000073B4: E05C1400 8095BC2A
	buffer_load_dwordx4 a[192:195], v43, s[84:87], 0 offen     // 0000000073BC: E05C1000 8095C02B
	buffer_load_dwordx4 a[196:199], v43, s[84:87], 0 offen offset:1024// 0000000073C4: E05C1400 8095C42B
	buffer_load_dwordx4 a[200:203], v44, s[84:87], 0 offen     // 0000000073CC: E05C1000 8095C82C
	buffer_load_dwordx4 a[204:207], v44, s[84:87], 0 offen offset:1024// 0000000073D4: E05C1400 8095CC2C
	s_add_u32 s84, s83, s84                                    // 0000000073DC: 80545453
	s_addc_u32 s85, 0, s85                                     // 0000000073E0: 82555580
	s_addk_i32 s80, 0x80                                       // 0000000073E4: B7500080
	s_cmp_lt_i32 s80, s81                                      // 0000000073E8: BF045150
	s_cbranch_scc0 label_1363                                  // 0000000073EC: BF8400E4
	s_waitcnt vmcnt(18) lgkmcnt(0)                             // 0000000073F0: BF8C4072
	v_mfma_f32_16x16x32_fp8_fp8 v[48:51], a[80:81], a[8:9], v[48:51]// 0000000073F4: D3F30030 1CC21150
	buffer_load_dwordx4 a[16:19], v37, s[24:27], 0 offen       // 0000000073FC: E05C1000 80861025
	v_mfma_f32_16x16x32_fp8_fp8 v[48:51], a[82:83], a[10:11], v[48:51]// 000000007404: D3F30030 1CC21552
	v_mfma_f32_16x16x32_fp8_fp8 v[48:51], a[84:85], a[12:13], v[48:51]// 00000000740C: D3F30030 1CC21954
	v_mfma_f32_16x16x32_fp8_fp8 v[48:51], a[86:87], a[14:15], v[48:51]// 000000007414: D3F30030 1CC21D56
	v_mfma_f32_16x16x32_fp8_fp8 v[52:55], a[88:89], a[8:9], v[52:55]// 00000000741C: D3F30034 1CD21158
	buffer_load_dwordx4 a[20:23], v37, s[24:27], 0 offen offset:1024// 000000007424: E05C1400 80861425
	v_mfma_f32_16x16x32_fp8_fp8 v[52:55], a[90:91], a[10:11], v[52:55]// 00000000742C: D3F30034 1CD2155A
	v_mfma_f32_16x16x32_fp8_fp8 v[52:55], a[92:93], a[12:13], v[52:55]// 000000007434: D3F30034 1CD2195C
	v_mfma_f32_16x16x32_fp8_fp8 v[52:55], a[94:95], a[14:15], v[52:55]// 00000000743C: D3F30034 1CD21D5E
	v_mfma_f32_16x16x32_fp8_fp8 v[56:59], a[96:97], a[8:9], v[56:59]// 000000007444: D3F30038 1CE21160
	buffer_load_dwordx4 a[24:27], v38, s[24:27], 0 offen       // 00000000744C: E05C1000 80861826
	v_mfma_f32_16x16x32_fp8_fp8 v[56:59], a[98:99], a[10:11], v[56:59]// 000000007454: D3F30038 1CE21562
	v_mfma_f32_16x16x32_fp8_fp8 v[56:59], a[100:101], a[12:13], v[56:59]// 00000000745C: D3F30038 1CE21964
	v_mfma_f32_16x16x32_fp8_fp8 v[56:59], a[102:103], a[14:15], v[56:59]// 000000007464: D3F30038 1CE21D66
	v_mfma_f32_16x16x32_fp8_fp8 v[60:63], a[104:105], a[8:9], v[60:63]// 00000000746C: D3F3003C 1CF21168
	buffer_load_dwordx4 a[28:31], v38, s[24:27], 0 offen offset:1024// 000000007474: E05C1400 80861C26
	v_mfma_f32_16x16x32_fp8_fp8 v[60:63], a[106:107], a[10:11], v[60:63]// 00000000747C: D3F3003C 1CF2156A
	v_mfma_f32_16x16x32_fp8_fp8 v[60:63], a[108:109], a[12:13], v[60:63]// 000000007484: D3F3003C 1CF2196C
	v_mfma_f32_16x16x32_fp8_fp8 v[60:63], a[110:111], a[14:15], v[60:63]// 00000000748C: D3F3003C 1CF21D6E
	v_mfma_f32_16x16x32_fp8_fp8 v[64:67], a[112:113], a[8:9], v[64:67]// 000000007494: D3F30040 1D021170
	buffer_load_dwordx4 a[32:35], v39, s[24:27], 0 offen       // 00000000749C: E05C1000 80862027
	v_mfma_f32_16x16x32_fp8_fp8 v[64:67], a[114:115], a[10:11], v[64:67]// 0000000074A4: D3F30040 1D021572
	v_mfma_f32_16x16x32_fp8_fp8 v[64:67], a[116:117], a[12:13], v[64:67]// 0000000074AC: D3F30040 1D021974
	v_mfma_f32_16x16x32_fp8_fp8 v[64:67], a[118:119], a[14:15], v[64:67]// 0000000074B4: D3F30040 1D021D76
	v_mfma_f32_16x16x32_fp8_fp8 v[68:71], a[120:121], a[8:9], v[68:71]// 0000000074BC: D3F30044 1D121178
	buffer_load_dwordx4 a[36:39], v39, s[24:27], 0 offen offset:1024// 0000000074C4: E05C1400 80862427
	v_mfma_f32_16x16x32_fp8_fp8 v[68:71], a[122:123], a[10:11], v[68:71]// 0000000074CC: D3F30044 1D12157A
	v_mfma_f32_16x16x32_fp8_fp8 v[68:71], a[124:125], a[12:13], v[68:71]// 0000000074D4: D3F30044 1D12197C
	v_mfma_f32_16x16x32_fp8_fp8 v[68:71], a[126:127], a[14:15], v[68:71]// 0000000074DC: D3F30044 1D121D7E
	v_mfma_f32_16x16x32_fp8_fp8 v[72:75], a[128:129], a[8:9], v[72:75]// 0000000074E4: D3F30048 1D221180
	buffer_load_dwordx4 a[40:43], v40, s[24:27], 0 offen       // 0000000074EC: E05C1000 80862828
	v_mfma_f32_16x16x32_fp8_fp8 v[72:75], a[130:131], a[10:11], v[72:75]// 0000000074F4: D3F30048 1D221582
	v_mfma_f32_16x16x32_fp8_fp8 v[72:75], a[132:133], a[12:13], v[72:75]// 0000000074FC: D3F30048 1D221984
	v_mfma_f32_16x16x32_fp8_fp8 v[72:75], a[134:135], a[14:15], v[72:75]// 000000007504: D3F30048 1D221D86
	v_mfma_f32_16x16x32_fp8_fp8 v[76:79], a[136:137], a[8:9], v[76:79]// 00000000750C: D3F3004C 1D321188
	buffer_load_dwordx4 a[44:47], v40, s[24:27], 0 offen offset:1024// 000000007514: E05C1400 80862C28
	v_mfma_f32_16x16x32_fp8_fp8 v[76:79], a[138:139], a[10:11], v[76:79]// 00000000751C: D3F3004C 1D32158A
	v_mfma_f32_16x16x32_fp8_fp8 v[76:79], a[140:141], a[12:13], v[76:79]// 000000007524: D3F3004C 1D32198C
	v_mfma_f32_16x16x32_fp8_fp8 v[76:79], a[142:143], a[14:15], v[76:79]// 00000000752C: D3F3004C 1D321D8E
	buffer_load_dwordx4 a[48:51], v41, s[24:27], 0 offen       // 000000007534: E05C1000 80863029
	buffer_load_dwordx4 a[52:55], v41, s[24:27], 0 offen offset:1024// 00000000753C: E05C1400 80863429
	buffer_load_dwordx4 a[56:59], v42, s[24:27], 0 offen       // 000000007544: E05C1000 8086382A
	buffer_load_dwordx4 a[60:63], v42, s[24:27], 0 offen offset:1024// 00000000754C: E05C1400 80863C2A
	buffer_load_dwordx4 a[64:67], v43, s[24:27], 0 offen       // 000000007554: E05C1000 8086402B
	buffer_load_dwordx4 a[68:71], v43, s[24:27], 0 offen offset:1024// 00000000755C: E05C1400 8086442B
	buffer_load_dwordx4 a[72:75], v44, s[24:27], 0 offen       // 000000007564: E05C1000 8086482C
	buffer_load_dwordx4 a[76:79], v44, s[24:27], 0 offen offset:1024// 00000000756C: E05C1400 80864C2C
	buffer_load_dword v35, s[20:23], 0 offen lds               // 000000007574: E0511000 80050023
	s_add_u32 m0, 0x100, s49                                   // 00000000757C: 807C31FF 00000100
	buffer_load_dword v36, s[20:23], 0 offen lds               // 000000007584: E0511000 80050024
	s_add_u32 m0, 0, s50                                       // 00000000758C: 807C3280
	s_waitcnt vmcnt(18)                                        // 000000007590: BF8C4F72
	s_barrier                                                  // 000000007594: BF8A0000
	v_mfma_f32_16x16x32_fp8_fp8 v[80:83], a[144:145], a[8:9], v[80:83]// 000000007598: D3F30050 1D421190
	buffer_load_dwordx4 a[80:83], v37, s[84:87], 0 offen       // 0000000075A0: E05C1000 80955025
	v_mfma_f32_16x16x32_fp8_fp8 v[80:83], a[146:147], a[10:11], v[80:83]// 0000000075A8: D3F30050 1D421592
	v_mfma_f32_16x16x32_fp8_fp8 v[80:83], a[148:149], a[12:13], v[80:83]// 0000000075B0: D3F30050 1D421994
	ds_read_b128 a[0:3], v2                                    // 0000000075B8: DBFE0000 00000002
	ds_read_b128 a[4:7], v2 offset:64                          // 0000000075C0: DBFE0040 04000002
	v_mfma_f32_16x16x32_fp8_fp8 v[80:83], a[150:151], a[14:15], v[80:83]// 0000000075C8: D3F30050 1D421D96
	v_mfma_f32_16x16x32_fp8_fp8 v[84:87], a[152:153], a[8:9], v[84:87]// 0000000075D0: D3F30054 1D521198
	buffer_load_dwordx4 a[84:87], v37, s[84:87], 0 offen offset:1024// 0000000075D8: E05C1400 80955425
	v_mfma_f32_16x16x32_fp8_fp8 v[84:87], a[154:155], a[10:11], v[84:87]// 0000000075E0: D3F30054 1D52159A
	v_mfma_f32_16x16x32_fp8_fp8 v[84:87], a[156:157], a[12:13], v[84:87]// 0000000075E8: D3F30054 1D52199C
	v_mfma_f32_16x16x32_fp8_fp8 v[84:87], a[158:159], a[14:15], v[84:87]// 0000000075F0: D3F30054 1D521D9E
	v_mfma_f32_16x16x32_fp8_fp8 v[88:91], a[160:161], a[8:9], v[88:91]// 0000000075F8: D3F30058 1D6211A0
	buffer_load_dwordx4 a[88:91], v38, s[84:87], 0 offen       // 000000007600: E05C1000 80955826
	v_mfma_f32_16x16x32_fp8_fp8 v[88:91], a[162:163], a[10:11], v[88:91]// 000000007608: D3F30058 1D6215A2
	v_mfma_f32_16x16x32_fp8_fp8 v[88:91], a[164:165], a[12:13], v[88:91]// 000000007610: D3F30058 1D6219A4
	v_mfma_f32_16x16x32_fp8_fp8 v[88:91], a[166:167], a[14:15], v[88:91]// 000000007618: D3F30058 1D621DA6
	v_mfma_f32_16x16x32_fp8_fp8 v[92:95], a[168:169], a[8:9], v[92:95]// 000000007620: D3F3005C 1D7211A8
	buffer_load_dwordx4 a[92:95], v38, s[84:87], 0 offen offset:1024// 000000007628: E05C1400 80955C26
	v_mfma_f32_16x16x32_fp8_fp8 v[92:95], a[170:171], a[10:11], v[92:95]// 000000007630: D3F3005C 1D7215AA
	v_mfma_f32_16x16x32_fp8_fp8 v[92:95], a[172:173], a[12:13], v[92:95]// 000000007638: D3F3005C 1D7219AC
	v_mfma_f32_16x16x32_fp8_fp8 v[92:95], a[174:175], a[14:15], v[92:95]// 000000007640: D3F3005C 1D721DAE
	v_mfma_f32_16x16x32_fp8_fp8 v[96:99], a[176:177], a[8:9], v[96:99]// 000000007648: D3F30060 1D8211B0
	buffer_load_dwordx4 a[96:99], v39, s[84:87], 0 offen       // 000000007650: E05C1000 80956027
	v_mfma_f32_16x16x32_fp8_fp8 v[96:99], a[178:179], a[10:11], v[96:99]// 000000007658: D3F30060 1D8215B2
	v_mfma_f32_16x16x32_fp8_fp8 v[96:99], a[180:181], a[12:13], v[96:99]// 000000007660: D3F30060 1D8219B4
	v_mfma_f32_16x16x32_fp8_fp8 v[96:99], a[182:183], a[14:15], v[96:99]// 000000007668: D3F30060 1D821DB6
	v_mfma_f32_16x16x32_fp8_fp8 v[100:103], a[184:185], a[8:9], v[100:103]// 000000007670: D3F30064 1D9211B8
	buffer_load_dwordx4 a[100:103], v39, s[84:87], 0 offen offset:1024// 000000007678: E05C1400 80956427
	v_mfma_f32_16x16x32_fp8_fp8 v[100:103], a[186:187], a[10:11], v[100:103]// 000000007680: D3F30064 1D9215BA
	v_mfma_f32_16x16x32_fp8_fp8 v[100:103], a[188:189], a[12:13], v[100:103]// 000000007688: D3F30064 1D9219BC
	v_mfma_f32_16x16x32_fp8_fp8 v[100:103], a[190:191], a[14:15], v[100:103]// 000000007690: D3F30064 1D921DBE
	v_mfma_f32_16x16x32_fp8_fp8 v[104:107], a[192:193], a[8:9], v[104:107]// 000000007698: D3F30068 1DA211C0
	buffer_load_dwordx4 a[104:107], v40, s[84:87], 0 offen     // 0000000076A0: E05C1000 80956828
	s_add_u32 s60, 0x180, s80                                  // 0000000076A8: 803C50FF 00000180
	s_cmp_lt_u32 s60, s81                                      // 0000000076B0: BF0A513C
	s_cselect_b32 s57, s57, 0                                  // 0000000076B4: 85398039
	v_mfma_f32_16x16x32_fp8_fp8 v[104:107], a[194:195], a[10:11], v[104:107]// 0000000076B8: D3F30068 1DA215C2
	s_add_u32 s60, 0x100, s80                                  // 0000000076C0: 803C50FF 00000100
	s_cmp_lt_u32 s60, s81                                      // 0000000076C8: BF0A513C
	s_cselect_b32 s58, s58, 0                                  // 0000000076CC: 853A803A
	v_mfma_f32_16x16x32_fp8_fp8 v[104:107], a[196:197], a[12:13], v[104:107]// 0000000076D0: D3F30068 1DA219C4
	s_add_u32 s60, 0x100, s80                                  // 0000000076D8: 803C50FF 00000100
	s_cmp_lt_u32 s60, s81                                      // 0000000076E0: BF0A513C
	s_cselect_b32 s83, s83, 0                                  // 0000000076E4: 85538053
	v_mfma_f32_16x16x32_fp8_fp8 v[104:107], a[198:199], a[14:15], v[104:107]// 0000000076E8: D3F30068 1DA21DC6
	s_add_u32 s24, s58, s24                                    // 0000000076F0: 8018183A
	s_addc_u32 s25, 0, s25                                     // 0000000076F4: 82191980
	v_mfma_f32_16x16x32_fp8_fp8 v[108:111], a[200:201], a[8:9], v[108:111]// 0000000076F8: D3F3006C 1DB211C8
	buffer_load_dwordx4 a[108:111], v40, s[84:87], 0 offen offset:1024// 000000007700: E05C1400 80956C28
	s_add_u32 s20, s57, s20                                    // 000000007708: 80141439
	s_addc_u32 s21, 0, s21                                     // 00000000770C: 82151580
	v_mfma_f32_16x16x32_fp8_fp8 v[108:111], a[202:203], a[10:11], v[108:111]// 000000007710: D3F3006C 1DB215CA
	v_mfma_f32_16x16x32_fp8_fp8 v[108:111], a[204:205], a[12:13], v[108:111]// 000000007718: D3F3006C 1DB219CC
	v_mfma_f32_16x16x32_fp8_fp8 v[108:111], a[206:207], a[14:15], v[108:111]// 000000007720: D3F3006C 1DB21DCE
	buffer_load_dwordx4 a[112:115], v41, s[84:87], 0 offen     // 000000007728: E05C1000 80957029
	buffer_load_dwordx4 a[116:119], v41, s[84:87], 0 offen offset:1024// 000000007730: E05C1400 80957429
	buffer_load_dwordx4 a[120:123], v42, s[84:87], 0 offen     // 000000007738: E05C1000 8095782A
	buffer_load_dwordx4 a[124:127], v42, s[84:87], 0 offen offset:1024// 000000007740: E05C1400 80957C2A
	buffer_load_dwordx4 a[128:131], v43, s[84:87], 0 offen     // 000000007748: E05C1000 8095802B
	buffer_load_dwordx4 a[132:135], v43, s[84:87], 0 offen offset:1024// 000000007750: E05C1400 8095842B
	buffer_load_dwordx4 a[136:139], v44, s[84:87], 0 offen     // 000000007758: E05C1000 8095882C
	buffer_load_dwordx4 a[140:143], v44, s[84:87], 0 offen offset:1024// 000000007760: E05C1400 80958C2C
	s_add_u32 s84, s83, s84                                    // 000000007768: 80545453
	s_addc_u32 s85, 0, s85                                     // 00000000776C: 82555580
	s_addk_i32 s80, 0x80                                       // 000000007770: B7500080
	s_cmp_lt_i32 s80, s81                                      // 000000007774: BF045150
	s_cbranch_scc0 label_1363                                  // 000000007778: BF840001
	s_branch label_0E10                                        // 00000000777C: BF82FAAD

0000000000007780 <label_1363>:
	v_mul_f32_dpp v48, v25, v48 row_newbcast:0 row_mask:0xf bank_mask:0xf// 000000007780: 0A6060FA FF015019
	v_mul_f32_dpp v49, v25, v49 row_newbcast:1 row_mask:0xf bank_mask:0xf// 000000007788: 0A6262FA FF015119
	v_mul_f32_dpp v50, v25, v50 row_newbcast:2 row_mask:0xf bank_mask:0xf// 000000007790: 0A6464FA FF015219
	v_mul_f32_dpp v51, v25, v51 row_newbcast:3 row_mask:0xf bank_mask:0xf// 000000007798: 0A6666FA FF015319
	v_mul_f32_dpp v52, v25, v52 row_newbcast:4 row_mask:0xf bank_mask:0xf// 0000000077A0: 0A6868FA FF015419
	v_mul_f32_dpp v53, v25, v53 row_newbcast:5 row_mask:0xf bank_mask:0xf// 0000000077A8: 0A6A6AFA FF015519
	v_mul_f32_dpp v54, v25, v54 row_newbcast:6 row_mask:0xf bank_mask:0xf// 0000000077B0: 0A6C6CFA FF015619
	v_mul_f32_dpp v55, v25, v55 row_newbcast:7 row_mask:0xf bank_mask:0xf// 0000000077B8: 0A6E6EFA FF015719
	v_mul_f32_dpp v56, v25, v56 row_newbcast:8 row_mask:0xf bank_mask:0xf// 0000000077C0: 0A7070FA FF015819
	v_mul_f32_dpp v57, v25, v57 row_newbcast:9 row_mask:0xf bank_mask:0xf// 0000000077C8: 0A7272FA FF015919
	v_mul_f32_dpp v58, v25, v58 row_newbcast:10 row_mask:0xf bank_mask:0xf// 0000000077D0: 0A7474FA FF015A19
	v_mul_f32_dpp v59, v25, v59 row_newbcast:11 row_mask:0xf bank_mask:0xf// 0000000077D8: 0A7676FA FF015B19
	v_mul_f32_dpp v60, v25, v60 row_newbcast:12 row_mask:0xf bank_mask:0xf// 0000000077E0: 0A7878FA FF015C19
	v_mul_f32_dpp v61, v25, v61 row_newbcast:13 row_mask:0xf bank_mask:0xf// 0000000077E8: 0A7A7AFA FF015D19
	v_mul_f32_dpp v62, v25, v62 row_newbcast:14 row_mask:0xf bank_mask:0xf// 0000000077F0: 0A7C7CFA FF015E19
	v_mul_f32_dpp v63, v25, v63 row_newbcast:15 row_mask:0xf bank_mask:0xf// 0000000077F8: 0A7E7EFA FF015F19
	v_mul_f32_dpp v64, v26, v64 row_newbcast:0 row_mask:0xf bank_mask:0xf// 000000007800: 0A8080FA FF01501A
	v_mul_f32_dpp v65, v26, v65 row_newbcast:1 row_mask:0xf bank_mask:0xf// 000000007808: 0A8282FA FF01511A
	v_mul_f32_dpp v66, v26, v66 row_newbcast:2 row_mask:0xf bank_mask:0xf// 000000007810: 0A8484FA FF01521A
	v_mul_f32_dpp v67, v26, v67 row_newbcast:3 row_mask:0xf bank_mask:0xf// 000000007818: 0A8686FA FF01531A
	v_mul_f32_dpp v68, v26, v68 row_newbcast:4 row_mask:0xf bank_mask:0xf// 000000007820: 0A8888FA FF01541A
	v_mul_f32_dpp v69, v26, v69 row_newbcast:5 row_mask:0xf bank_mask:0xf// 000000007828: 0A8A8AFA FF01551A
	v_mul_f32_dpp v70, v26, v70 row_newbcast:6 row_mask:0xf bank_mask:0xf// 000000007830: 0A8C8CFA FF01561A
	v_mul_f32_dpp v71, v26, v71 row_newbcast:7 row_mask:0xf bank_mask:0xf// 000000007838: 0A8E8EFA FF01571A
	v_mul_f32_dpp v72, v26, v72 row_newbcast:8 row_mask:0xf bank_mask:0xf// 000000007840: 0A9090FA FF01581A
	v_mul_f32_dpp v73, v26, v73 row_newbcast:9 row_mask:0xf bank_mask:0xf// 000000007848: 0A9292FA FF01591A
	v_mul_f32_dpp v74, v26, v74 row_newbcast:10 row_mask:0xf bank_mask:0xf// 000000007850: 0A9494FA FF015A1A
	v_mul_f32_dpp v75, v26, v75 row_newbcast:11 row_mask:0xf bank_mask:0xf// 000000007858: 0A9696FA FF015B1A
	v_mul_f32_dpp v76, v26, v76 row_newbcast:12 row_mask:0xf bank_mask:0xf// 000000007860: 0A9898FA FF015C1A
	v_mul_f32_dpp v77, v26, v77 row_newbcast:13 row_mask:0xf bank_mask:0xf// 000000007868: 0A9A9AFA FF015D1A
	v_mul_f32_dpp v78, v26, v78 row_newbcast:14 row_mask:0xf bank_mask:0xf// 000000007870: 0A9C9CFA FF015E1A
	v_mul_f32_dpp v79, v26, v79 row_newbcast:15 row_mask:0xf bank_mask:0xf// 000000007878: 0A9E9EFA FF015F1A
	v_mul_f32_dpp v80, v28, v80 row_newbcast:0 row_mask:0xf bank_mask:0xf// 000000007880: 0AA0A0FA FF01501C
	v_mul_f32_dpp v81, v28, v81 row_newbcast:1 row_mask:0xf bank_mask:0xf// 000000007888: 0AA2A2FA FF01511C
	v_mul_f32_dpp v82, v28, v82 row_newbcast:2 row_mask:0xf bank_mask:0xf// 000000007890: 0AA4A4FA FF01521C
	v_mul_f32_dpp v83, v28, v83 row_newbcast:3 row_mask:0xf bank_mask:0xf// 000000007898: 0AA6A6FA FF01531C
	v_mul_f32_dpp v84, v28, v84 row_newbcast:4 row_mask:0xf bank_mask:0xf// 0000000078A0: 0AA8A8FA FF01541C
	v_mul_f32_dpp v85, v28, v85 row_newbcast:5 row_mask:0xf bank_mask:0xf// 0000000078A8: 0AAAAAFA FF01551C
	v_mul_f32_dpp v86, v28, v86 row_newbcast:6 row_mask:0xf bank_mask:0xf// 0000000078B0: 0AACACFA FF01561C
	v_mul_f32_dpp v87, v28, v87 row_newbcast:7 row_mask:0xf bank_mask:0xf// 0000000078B8: 0AAEAEFA FF01571C
	v_mul_f32_dpp v88, v28, v88 row_newbcast:8 row_mask:0xf bank_mask:0xf// 0000000078C0: 0AB0B0FA FF01581C
	v_mul_f32_dpp v89, v28, v89 row_newbcast:9 row_mask:0xf bank_mask:0xf// 0000000078C8: 0AB2B2FA FF01591C
	v_mul_f32_dpp v90, v28, v90 row_newbcast:10 row_mask:0xf bank_mask:0xf// 0000000078D0: 0AB4B4FA FF015A1C
	v_mul_f32_dpp v91, v28, v91 row_newbcast:11 row_mask:0xf bank_mask:0xf// 0000000078D8: 0AB6B6FA FF015B1C
	v_mul_f32_dpp v92, v28, v92 row_newbcast:12 row_mask:0xf bank_mask:0xf// 0000000078E0: 0AB8B8FA FF015C1C
	v_mul_f32_dpp v93, v28, v93 row_newbcast:13 row_mask:0xf bank_mask:0xf// 0000000078E8: 0ABABAFA FF015D1C
	v_mul_f32_dpp v94, v28, v94 row_newbcast:14 row_mask:0xf bank_mask:0xf// 0000000078F0: 0ABCBCFA FF015E1C
	v_mul_f32_dpp v95, v28, v95 row_newbcast:15 row_mask:0xf bank_mask:0xf// 0000000078F8: 0ABEBEFA FF015F1C
	v_mul_f32_dpp v96, v29, v96 row_newbcast:0 row_mask:0xf bank_mask:0xf// 000000007900: 0AC0C0FA FF01501D
	v_mul_f32_dpp v97, v29, v97 row_newbcast:1 row_mask:0xf bank_mask:0xf// 000000007908: 0AC2C2FA FF01511D
	v_mul_f32_dpp v98, v29, v98 row_newbcast:2 row_mask:0xf bank_mask:0xf// 000000007910: 0AC4C4FA FF01521D
	v_mul_f32_dpp v99, v29, v99 row_newbcast:3 row_mask:0xf bank_mask:0xf// 000000007918: 0AC6C6FA FF01531D
	v_mul_f32_dpp v100, v29, v100 row_newbcast:4 row_mask:0xf bank_mask:0xf// 000000007920: 0AC8C8FA FF01541D
	v_mul_f32_dpp v101, v29, v101 row_newbcast:5 row_mask:0xf bank_mask:0xf// 000000007928: 0ACACAFA FF01551D
	v_mul_f32_dpp v102, v29, v102 row_newbcast:6 row_mask:0xf bank_mask:0xf// 000000007930: 0ACCCCFA FF01561D
	v_mul_f32_dpp v103, v29, v103 row_newbcast:7 row_mask:0xf bank_mask:0xf// 000000007938: 0ACECEFA FF01571D
	v_mul_f32_dpp v104, v29, v104 row_newbcast:8 row_mask:0xf bank_mask:0xf// 000000007940: 0AD0D0FA FF01581D
	v_mul_f32_dpp v105, v29, v105 row_newbcast:9 row_mask:0xf bank_mask:0xf// 000000007948: 0AD2D2FA FF01591D
	v_mul_f32_dpp v106, v29, v106 row_newbcast:10 row_mask:0xf bank_mask:0xf// 000000007950: 0AD4D4FA FF015A1D
	v_mul_f32_dpp v107, v29, v107 row_newbcast:11 row_mask:0xf bank_mask:0xf// 000000007958: 0AD6D6FA FF015B1D
	v_mul_f32_dpp v108, v29, v108 row_newbcast:12 row_mask:0xf bank_mask:0xf// 000000007960: 0AD8D8FA FF015C1D
	v_mul_f32_dpp v109, v29, v109 row_newbcast:13 row_mask:0xf bank_mask:0xf// 000000007968: 0ADADAFA FF015D1D
	v_mul_f32_dpp v110, v29, v110 row_newbcast:14 row_mask:0xf bank_mask:0xf// 000000007970: 0ADCDCFA FF015E1D
	v_mul_f32_dpp v111, v29, v111 row_newbcast:15 row_mask:0xf bank_mask:0xf// 000000007978: 0ADEDEFA FF015F1D
	v_mul_f32_e32 v32, v32, v112                               // 000000007980: 0A40E120
	v_mov_b32_e32 v4, v32                                      // 000000007984: 7E080320
	v_mov_b32_e32 v5, v4                                       // 000000007988: 7E0A0304
	v_pk_mul_f32 v[48:49], v[4:5], v[48:49]                    // 00000000798C: D3B14030 18026104
	v_pk_mul_f32 v[80:81], v[4:5], v[80:81]                    // 000000007994: D3B14050 1802A104
	v_pk_mul_f32 v[50:51], v[4:5], v[50:51]                    // 00000000799C: D3B14032 18026504
	v_pk_mul_f32 v[82:83], v[4:5], v[82:83]                    // 0000000079A4: D3B14052 1802A504
	v_pk_mul_f32 v[52:53], v[4:5], v[52:53]                    // 0000000079AC: D3B14034 18026904
	v_pk_mul_f32 v[84:85], v[4:5], v[84:85]                    // 0000000079B4: D3B14054 1802A904
	v_pk_mul_f32 v[54:55], v[4:5], v[54:55]                    // 0000000079BC: D3B14036 18026D04
	v_pk_mul_f32 v[86:87], v[4:5], v[86:87]                    // 0000000079C4: D3B14056 1802AD04
	v_pk_mul_f32 v[56:57], v[4:5], v[56:57]                    // 0000000079CC: D3B14038 18027104
	v_pk_mul_f32 v[88:89], v[4:5], v[88:89]                    // 0000000079D4: D3B14058 1802B104
	v_pk_mul_f32 v[58:59], v[4:5], v[58:59]                    // 0000000079DC: D3B1403A 18027504
	v_pk_mul_f32 v[90:91], v[4:5], v[90:91]                    // 0000000079E4: D3B1405A 1802B504
	v_pk_mul_f32 v[60:61], v[4:5], v[60:61]                    // 0000000079EC: D3B1403C 18027904
	v_pk_mul_f32 v[92:93], v[4:5], v[92:93]                    // 0000000079F4: D3B1405C 1802B904
	v_pk_mul_f32 v[62:63], v[4:5], v[62:63]                    // 0000000079FC: D3B1403E 18027D04
	v_pk_mul_f32 v[94:95], v[4:5], v[94:95]                    // 000000007A04: D3B1405E 1802BD04
	v_pk_mul_f32 v[64:65], v[4:5], v[64:65]                    // 000000007A0C: D3B14040 18028104
	v_pk_mul_f32 v[96:97], v[4:5], v[96:97]                    // 000000007A14: D3B14060 1802C104
	v_pk_mul_f32 v[66:67], v[4:5], v[66:67]                    // 000000007A1C: D3B14042 18028504
	v_pk_mul_f32 v[98:99], v[4:5], v[98:99]                    // 000000007A24: D3B14062 1802C504
	v_pk_mul_f32 v[68:69], v[4:5], v[68:69]                    // 000000007A2C: D3B14044 18028904
	v_pk_mul_f32 v[100:101], v[4:5], v[100:101]                // 000000007A34: D3B14064 1802C904
	v_pk_mul_f32 v[70:71], v[4:5], v[70:71]                    // 000000007A3C: D3B14046 18028D04
	v_pk_mul_f32 v[102:103], v[4:5], v[102:103]                // 000000007A44: D3B14066 1802CD04
	v_pk_mul_f32 v[72:73], v[4:5], v[72:73]                    // 000000007A4C: D3B14048 18029104
	v_pk_mul_f32 v[104:105], v[4:5], v[104:105]                // 000000007A54: D3B14068 1802D104
	v_pk_mul_f32 v[74:75], v[4:5], v[74:75]                    // 000000007A5C: D3B1404A 18029504
	v_pk_mul_f32 v[106:107], v[4:5], v[106:107]                // 000000007A64: D3B1406A 1802D504
	v_pk_mul_f32 v[76:77], v[4:5], v[76:77]                    // 000000007A6C: D3B1404C 18029904
	v_pk_mul_f32 v[108:109], v[4:5], v[108:109]                // 000000007A74: D3B1406C 1802D904
	v_pk_mul_f32 v[78:79], v[4:5], v[78:79]                    // 000000007A7C: D3B1404E 18029D04
	v_pk_mul_f32 v[110:111], v[4:5], v[110:111]                // 000000007A84: D3B1406E 1802DD04
	s_cmp_eq_u32 s88, 0                                        // 000000007A8C: BF068058
	s_cbranch_scc0 label_1805                                  // 000000007A90: BF8403DD
	s_cmp_eq_u32 s89, 0                                        // 000000007A94: BF068059
	s_cbranch_scc1 label_156F                                  // 000000007A98: BF850145
	v_mov_b32_e32 v8, v1                                       // 000000007A9C: 7E100301
	v_mov_b32_e32 v9, v1                                       // 000000007AA0: 7E120301
	s_mov_b32 s60, s6                                          // 000000007AA4: BEBC0006
	s_mov_b32 s61, s6                                          // 000000007AA8: BEBD0006
	v_pk_mul_f32 v[4:5], v[48:49], v[48:49]                    // 000000007AAC: D3B14004 18026130
	v_pk_mul_f32 v[6:7], v[50:51], v[50:51]                    // 000000007AB4: D3B14006 18026532
	v_pk_fma_f32 v[4:5], v[4:5], s[78:79], v[8:9]              // 000000007ABC: D3B04004 1C209D04
	v_pk_fma_f32 v[6:7], v[6:7], s[78:79], v[8:9]              // 000000007AC4: D3B04006 1C209D06
	v_pk_mul_f32 v[4:5], v[4:5], v[48:49]                      // 000000007ACC: D3B14004 18026104
	v_pk_mul_f32 v[6:7], v[6:7], v[50:51]                      // 000000007AD4: D3B14006 18026506
	v_pk_mul_f32 v[4:5], v[4:5], s[60:61]                      // 000000007ADC: D3B14004 18007904
	v_pk_mul_f32 v[6:7], v[6:7], s[60:61]                      // 000000007AE4: D3B14006 18007906
	v_exp_f32_e32 v4, v4                                       // 000000007AEC: 7E084104
	v_exp_f32_e32 v5, v5                                       // 000000007AF0: 7E0A4105
	v_exp_f32_e32 v6, v6                                       // 000000007AF4: 7E0C4106
	v_exp_f32_e32 v7, v7                                       // 000000007AF8: 7E0E4107
	v_add_f32_e64 v4, v4, 1.0                                  // 000000007AFC: D1010004 0001E504
	v_add_f32_e64 v5, v5, 1.0                                  // 000000007B04: D1010005 0001E505
	v_add_f32_e64 v6, v6, 1.0                                  // 000000007B0C: D1010006 0001E506
	v_add_f32_e64 v7, v7, 1.0                                  // 000000007B14: D1010007 0001E507
	v_rcp_f32_e32 v4, v4                                       // 000000007B1C: 7E084504
	v_rcp_f32_e32 v5, v5                                       // 000000007B20: 7E0A4505
	v_rcp_f32_e32 v6, v6                                       // 000000007B24: 7E0C4506
	v_rcp_f32_e32 v7, v7                                       // 000000007B28: 7E0E4507
	v_mul_f32_e32 v48, v48, v4                                 // 000000007B2C: 0A600930
	v_mul_f32_e32 v49, v49, v5                                 // 000000007B30: 0A620B31
	v_mul_f32_e32 v50, v50, v6                                 // 000000007B34: 0A640D32
	v_mul_f32_e32 v51, v51, v7                                 // 000000007B38: 0A660F33
	v_mul_f32_e32 v48, v48, v80                                // 000000007B3C: 0A60A130
	v_mul_f32_e32 v49, v49, v81                                // 000000007B40: 0A62A331
	v_mul_f32_e32 v50, v50, v82                                // 000000007B44: 0A64A532
	v_mul_f32_e32 v51, v51, v83                                // 000000007B48: 0A66A733
	v_pk_mul_f32 v[4:5], v[52:53], v[52:53]                    // 000000007B4C: D3B14004 18026934
	v_pk_mul_f32 v[6:7], v[54:55], v[54:55]                    // 000000007B54: D3B14006 18026D36
	v_pk_fma_f32 v[4:5], v[4:5], s[78:79], v[8:9]              // 000000007B5C: D3B04004 1C209D04
	v_pk_fma_f32 v[6:7], v[6:7], s[78:79], v[8:9]              // 000000007B64: D3B04006 1C209D06
	v_pk_mul_f32 v[4:5], v[4:5], v[52:53]                      // 000000007B6C: D3B14004 18026904
	v_pk_mul_f32 v[6:7], v[6:7], v[54:55]                      // 000000007B74: D3B14006 18026D06
	v_pk_mul_f32 v[4:5], v[4:5], s[60:61]                      // 000000007B7C: D3B14004 18007904
	v_pk_mul_f32 v[6:7], v[6:7], s[60:61]                      // 000000007B84: D3B14006 18007906
	v_exp_f32_e32 v4, v4                                       // 000000007B8C: 7E084104
	v_exp_f32_e32 v5, v5                                       // 000000007B90: 7E0A4105
	v_exp_f32_e32 v6, v6                                       // 000000007B94: 7E0C4106
	v_exp_f32_e32 v7, v7                                       // 000000007B98: 7E0E4107
	v_add_f32_e64 v4, v4, 1.0                                  // 000000007B9C: D1010004 0001E504
	v_add_f32_e64 v5, v5, 1.0                                  // 000000007BA4: D1010005 0001E505
	v_add_f32_e64 v6, v6, 1.0                                  // 000000007BAC: D1010006 0001E506
	v_add_f32_e64 v7, v7, 1.0                                  // 000000007BB4: D1010007 0001E507
	v_rcp_f32_e32 v4, v4                                       // 000000007BBC: 7E084504
	v_rcp_f32_e32 v5, v5                                       // 000000007BC0: 7E0A4505
	v_rcp_f32_e32 v6, v6                                       // 000000007BC4: 7E0C4506
	v_rcp_f32_e32 v7, v7                                       // 000000007BC8: 7E0E4507
	v_mul_f32_e32 v52, v52, v4                                 // 000000007BCC: 0A680934
	v_mul_f32_e32 v53, v53, v5                                 // 000000007BD0: 0A6A0B35
	v_mul_f32_e32 v54, v54, v6                                 // 000000007BD4: 0A6C0D36
	v_mul_f32_e32 v55, v55, v7                                 // 000000007BD8: 0A6E0F37
	v_mul_f32_e32 v52, v52, v84                                // 000000007BDC: 0A68A934
	v_mul_f32_e32 v53, v53, v85                                // 000000007BE0: 0A6AAB35
	v_mul_f32_e32 v54, v54, v86                                // 000000007BE4: 0A6CAD36
	v_mul_f32_e32 v55, v55, v87                                // 000000007BE8: 0A6EAF37
	v_pk_mul_f32 v[4:5], v[56:57], v[56:57]                    // 000000007BEC: D3B14004 18027138
	v_pk_mul_f32 v[6:7], v[58:59], v[58:59]                    // 000000007BF4: D3B14006 1802753A
	v_pk_fma_f32 v[4:5], v[4:5], s[78:79], v[8:9]              // 000000007BFC: D3B04004 1C209D04
	v_pk_fma_f32 v[6:7], v[6:7], s[78:79], v[8:9]              // 000000007C04: D3B04006 1C209D06
	v_pk_mul_f32 v[4:5], v[4:5], v[56:57]                      // 000000007C0C: D3B14004 18027104
	v_pk_mul_f32 v[6:7], v[6:7], v[58:59]                      // 000000007C14: D3B14006 18027506
	v_pk_mul_f32 v[4:5], v[4:5], s[60:61]                      // 000000007C1C: D3B14004 18007904
	v_pk_mul_f32 v[6:7], v[6:7], s[60:61]                      // 000000007C24: D3B14006 18007906
	v_exp_f32_e32 v4, v4                                       // 000000007C2C: 7E084104
	v_exp_f32_e32 v5, v5                                       // 000000007C30: 7E0A4105
	v_exp_f32_e32 v6, v6                                       // 000000007C34: 7E0C4106
	v_exp_f32_e32 v7, v7                                       // 000000007C38: 7E0E4107
	v_add_f32_e64 v4, v4, 1.0                                  // 000000007C3C: D1010004 0001E504
	v_add_f32_e64 v5, v5, 1.0                                  // 000000007C44: D1010005 0001E505
	v_add_f32_e64 v6, v6, 1.0                                  // 000000007C4C: D1010006 0001E506
	v_add_f32_e64 v7, v7, 1.0                                  // 000000007C54: D1010007 0001E507
	v_rcp_f32_e32 v4, v4                                       // 000000007C5C: 7E084504
	v_rcp_f32_e32 v5, v5                                       // 000000007C60: 7E0A4505
	v_rcp_f32_e32 v6, v6                                       // 000000007C64: 7E0C4506
	v_rcp_f32_e32 v7, v7                                       // 000000007C68: 7E0E4507
	v_mul_f32_e32 v56, v56, v4                                 // 000000007C6C: 0A700938
	v_mul_f32_e32 v57, v57, v5                                 // 000000007C70: 0A720B39
	v_mul_f32_e32 v58, v58, v6                                 // 000000007C74: 0A740D3A
	v_mul_f32_e32 v59, v59, v7                                 // 000000007C78: 0A760F3B
	v_mul_f32_e32 v56, v56, v88                                // 000000007C7C: 0A70B138
	v_mul_f32_e32 v57, v57, v89                                // 000000007C80: 0A72B339
	v_mul_f32_e32 v58, v58, v90                                // 000000007C84: 0A74B53A
	v_mul_f32_e32 v59, v59, v91                                // 000000007C88: 0A76B73B
	v_pk_mul_f32 v[4:5], v[60:61], v[60:61]                    // 000000007C8C: D3B14004 1802793C
	v_pk_mul_f32 v[6:7], v[62:63], v[62:63]                    // 000000007C94: D3B14006 18027D3E
	v_pk_fma_f32 v[4:5], v[4:5], s[78:79], v[8:9]              // 000000007C9C: D3B04004 1C209D04
	v_pk_fma_f32 v[6:7], v[6:7], s[78:79], v[8:9]              // 000000007CA4: D3B04006 1C209D06
	v_pk_mul_f32 v[4:5], v[4:5], v[60:61]                      // 000000007CAC: D3B14004 18027904
	v_pk_mul_f32 v[6:7], v[6:7], v[62:63]                      // 000000007CB4: D3B14006 18027D06
	v_pk_mul_f32 v[4:5], v[4:5], s[60:61]                      // 000000007CBC: D3B14004 18007904
	v_pk_mul_f32 v[6:7], v[6:7], s[60:61]                      // 000000007CC4: D3B14006 18007906
	v_exp_f32_e32 v4, v4                                       // 000000007CCC: 7E084104
	v_exp_f32_e32 v5, v5                                       // 000000007CD0: 7E0A4105
	v_exp_f32_e32 v6, v6                                       // 000000007CD4: 7E0C4106
	v_exp_f32_e32 v7, v7                                       // 000000007CD8: 7E0E4107
	v_add_f32_e64 v4, v4, 1.0                                  // 000000007CDC: D1010004 0001E504
	v_add_f32_e64 v5, v5, 1.0                                  // 000000007CE4: D1010005 0001E505
	v_add_f32_e64 v6, v6, 1.0                                  // 000000007CEC: D1010006 0001E506
	v_add_f32_e64 v7, v7, 1.0                                  // 000000007CF4: D1010007 0001E507
	v_rcp_f32_e32 v4, v4                                       // 000000007CFC: 7E084504
	v_rcp_f32_e32 v5, v5                                       // 000000007D00: 7E0A4505
	v_rcp_f32_e32 v6, v6                                       // 000000007D04: 7E0C4506
	v_rcp_f32_e32 v7, v7                                       // 000000007D08: 7E0E4507
	v_mul_f32_e32 v60, v60, v4                                 // 000000007D0C: 0A78093C
	v_mul_f32_e32 v61, v61, v5                                 // 000000007D10: 0A7A0B3D
	v_mul_f32_e32 v62, v62, v6                                 // 000000007D14: 0A7C0D3E
	v_mul_f32_e32 v63, v63, v7                                 // 000000007D18: 0A7E0F3F
	v_mul_f32_e32 v60, v60, v92                                // 000000007D1C: 0A78B93C
	v_mul_f32_e32 v61, v61, v93                                // 000000007D20: 0A7ABB3D
	v_mul_f32_e32 v62, v62, v94                                // 000000007D24: 0A7CBD3E
	v_mul_f32_e32 v63, v63, v95                                // 000000007D28: 0A7EBF3F
	v_pk_mul_f32 v[4:5], v[64:65], v[64:65]                    // 000000007D2C: D3B14004 18028140
	v_pk_mul_f32 v[6:7], v[66:67], v[66:67]                    // 000000007D34: D3B14006 18028542
	v_pk_fma_f32 v[4:5], v[4:5], s[78:79], v[8:9]              // 000000007D3C: D3B04004 1C209D04
	v_pk_fma_f32 v[6:7], v[6:7], s[78:79], v[8:9]              // 000000007D44: D3B04006 1C209D06
	v_pk_mul_f32 v[4:5], v[4:5], v[64:65]                      // 000000007D4C: D3B14004 18028104
	v_pk_mul_f32 v[6:7], v[6:7], v[66:67]                      // 000000007D54: D3B14006 18028506
	v_pk_mul_f32 v[4:5], v[4:5], s[60:61]                      // 000000007D5C: D3B14004 18007904
	v_pk_mul_f32 v[6:7], v[6:7], s[60:61]                      // 000000007D64: D3B14006 18007906
	v_exp_f32_e32 v4, v4                                       // 000000007D6C: 7E084104
	v_exp_f32_e32 v5, v5                                       // 000000007D70: 7E0A4105
	v_exp_f32_e32 v6, v6                                       // 000000007D74: 7E0C4106
	v_exp_f32_e32 v7, v7                                       // 000000007D78: 7E0E4107
	v_add_f32_e64 v4, v4, 1.0                                  // 000000007D7C: D1010004 0001E504
	v_add_f32_e64 v5, v5, 1.0                                  // 000000007D84: D1010005 0001E505
	v_add_f32_e64 v6, v6, 1.0                                  // 000000007D8C: D1010006 0001E506
	v_add_f32_e64 v7, v7, 1.0                                  // 000000007D94: D1010007 0001E507
	v_rcp_f32_e32 v4, v4                                       // 000000007D9C: 7E084504
	v_rcp_f32_e32 v5, v5                                       // 000000007DA0: 7E0A4505
	v_rcp_f32_e32 v6, v6                                       // 000000007DA4: 7E0C4506
	v_rcp_f32_e32 v7, v7                                       // 000000007DA8: 7E0E4507
	v_mul_f32_e32 v64, v64, v4                                 // 000000007DAC: 0A800940
	v_mul_f32_e32 v65, v65, v5                                 // 000000007DB0: 0A820B41
	v_mul_f32_e32 v66, v66, v6                                 // 000000007DB4: 0A840D42
	v_mul_f32_e32 v67, v67, v7                                 // 000000007DB8: 0A860F43
	v_mul_f32_e32 v64, v64, v96                                // 000000007DBC: 0A80C140
	v_mul_f32_e32 v65, v65, v97                                // 000000007DC0: 0A82C341
	v_mul_f32_e32 v66, v66, v98                                // 000000007DC4: 0A84C542
	v_mul_f32_e32 v67, v67, v99                                // 000000007DC8: 0A86C743
	v_pk_mul_f32 v[4:5], v[68:69], v[68:69]                    // 000000007DCC: D3B14004 18028944
	v_pk_mul_f32 v[6:7], v[70:71], v[70:71]                    // 000000007DD4: D3B14006 18028D46
	v_pk_fma_f32 v[4:5], v[4:5], s[78:79], v[8:9]              // 000000007DDC: D3B04004 1C209D04
	v_pk_fma_f32 v[6:7], v[6:7], s[78:79], v[8:9]              // 000000007DE4: D3B04006 1C209D06
	v_pk_mul_f32 v[4:5], v[4:5], v[68:69]                      // 000000007DEC: D3B14004 18028904
	v_pk_mul_f32 v[6:7], v[6:7], v[70:71]                      // 000000007DF4: D3B14006 18028D06
	v_pk_mul_f32 v[4:5], v[4:5], s[60:61]                      // 000000007DFC: D3B14004 18007904
	v_pk_mul_f32 v[6:7], v[6:7], s[60:61]                      // 000000007E04: D3B14006 18007906
	v_exp_f32_e32 v4, v4                                       // 000000007E0C: 7E084104
	v_exp_f32_e32 v5, v5                                       // 000000007E10: 7E0A4105
	v_exp_f32_e32 v6, v6                                       // 000000007E14: 7E0C4106
	v_exp_f32_e32 v7, v7                                       // 000000007E18: 7E0E4107
	v_add_f32_e64 v4, v4, 1.0                                  // 000000007E1C: D1010004 0001E504
	v_add_f32_e64 v5, v5, 1.0                                  // 000000007E24: D1010005 0001E505
	v_add_f32_e64 v6, v6, 1.0                                  // 000000007E2C: D1010006 0001E506
	v_add_f32_e64 v7, v7, 1.0                                  // 000000007E34: D1010007 0001E507
	v_rcp_f32_e32 v4, v4                                       // 000000007E3C: 7E084504
	v_rcp_f32_e32 v5, v5                                       // 000000007E40: 7E0A4505
	v_rcp_f32_e32 v6, v6                                       // 000000007E44: 7E0C4506
	v_rcp_f32_e32 v7, v7                                       // 000000007E48: 7E0E4507
	v_mul_f32_e32 v68, v68, v4                                 // 000000007E4C: 0A880944
	v_mul_f32_e32 v69, v69, v5                                 // 000000007E50: 0A8A0B45
	v_mul_f32_e32 v70, v70, v6                                 // 000000007E54: 0A8C0D46
	v_mul_f32_e32 v71, v71, v7                                 // 000000007E58: 0A8E0F47
	v_mul_f32_e32 v68, v68, v100                               // 000000007E5C: 0A88C944
	v_mul_f32_e32 v69, v69, v101                               // 000000007E60: 0A8ACB45
	v_mul_f32_e32 v70, v70, v102                               // 000000007E64: 0A8CCD46
	v_mul_f32_e32 v71, v71, v103                               // 000000007E68: 0A8ECF47
	v_pk_mul_f32 v[4:5], v[72:73], v[72:73]                    // 000000007E6C: D3B14004 18029148
	v_pk_mul_f32 v[6:7], v[74:75], v[74:75]                    // 000000007E74: D3B14006 1802954A
	v_pk_fma_f32 v[4:5], v[4:5], s[78:79], v[8:9]              // 000000007E7C: D3B04004 1C209D04
	v_pk_fma_f32 v[6:7], v[6:7], s[78:79], v[8:9]              // 000000007E84: D3B04006 1C209D06
	v_pk_mul_f32 v[4:5], v[4:5], v[72:73]                      // 000000007E8C: D3B14004 18029104
	v_pk_mul_f32 v[6:7], v[6:7], v[74:75]                      // 000000007E94: D3B14006 18029506
	v_pk_mul_f32 v[4:5], v[4:5], s[60:61]                      // 000000007E9C: D3B14004 18007904
	v_pk_mul_f32 v[6:7], v[6:7], s[60:61]                      // 000000007EA4: D3B14006 18007906
	v_exp_f32_e32 v4, v4                                       // 000000007EAC: 7E084104
	v_exp_f32_e32 v5, v5                                       // 000000007EB0: 7E0A4105
	v_exp_f32_e32 v6, v6                                       // 000000007EB4: 7E0C4106
	v_exp_f32_e32 v7, v7                                       // 000000007EB8: 7E0E4107
	v_add_f32_e64 v4, v4, 1.0                                  // 000000007EBC: D1010004 0001E504
	v_add_f32_e64 v5, v5, 1.0                                  // 000000007EC4: D1010005 0001E505
	v_add_f32_e64 v6, v6, 1.0                                  // 000000007ECC: D1010006 0001E506
	v_add_f32_e64 v7, v7, 1.0                                  // 000000007ED4: D1010007 0001E507
	v_rcp_f32_e32 v4, v4                                       // 000000007EDC: 7E084504
	v_rcp_f32_e32 v5, v5                                       // 000000007EE0: 7E0A4505
	v_rcp_f32_e32 v6, v6                                       // 000000007EE4: 7E0C4506
	v_rcp_f32_e32 v7, v7                                       // 000000007EE8: 7E0E4507
	v_mul_f32_e32 v72, v72, v4                                 // 000000007EEC: 0A900948
	v_mul_f32_e32 v73, v73, v5                                 // 000000007EF0: 0A920B49
	v_mul_f32_e32 v74, v74, v6                                 // 000000007EF4: 0A940D4A
	v_mul_f32_e32 v75, v75, v7                                 // 000000007EF8: 0A960F4B
	v_mul_f32_e32 v72, v72, v104                               // 000000007EFC: 0A90D148
	v_mul_f32_e32 v73, v73, v105                               // 000000007F00: 0A92D349
	v_mul_f32_e32 v74, v74, v106                               // 000000007F04: 0A94D54A
	v_mul_f32_e32 v75, v75, v107                               // 000000007F08: 0A96D74B
	v_pk_mul_f32 v[4:5], v[76:77], v[76:77]                    // 000000007F0C: D3B14004 1802994C
	v_pk_mul_f32 v[6:7], v[78:79], v[78:79]                    // 000000007F14: D3B14006 18029D4E
	v_pk_fma_f32 v[4:5], v[4:5], s[78:79], v[8:9]              // 000000007F1C: D3B04004 1C209D04
	v_pk_fma_f32 v[6:7], v[6:7], s[78:79], v[8:9]              // 000000007F24: D3B04006 1C209D06
	v_pk_mul_f32 v[4:5], v[4:5], v[76:77]                      // 000000007F2C: D3B14004 18029904
	v_pk_mul_f32 v[6:7], v[6:7], v[78:79]                      // 000000007F34: D3B14006 18029D06
	v_pk_mul_f32 v[4:5], v[4:5], s[60:61]                      // 000000007F3C: D3B14004 18007904
	v_pk_mul_f32 v[6:7], v[6:7], s[60:61]                      // 000000007F44: D3B14006 18007906
	v_exp_f32_e32 v4, v4                                       // 000000007F4C: 7E084104
	v_exp_f32_e32 v5, v5                                       // 000000007F50: 7E0A4105
	v_exp_f32_e32 v6, v6                                       // 000000007F54: 7E0C4106
	v_exp_f32_e32 v7, v7                                       // 000000007F58: 7E0E4107
	v_add_f32_e64 v4, v4, 1.0                                  // 000000007F5C: D1010004 0001E504
	v_add_f32_e64 v5, v5, 1.0                                  // 000000007F64: D1010005 0001E505
	v_add_f32_e64 v6, v6, 1.0                                  // 000000007F6C: D1010006 0001E506
	v_add_f32_e64 v7, v7, 1.0                                  // 000000007F74: D1010007 0001E507
	v_rcp_f32_e32 v4, v4                                       // 000000007F7C: 7E084504
	v_rcp_f32_e32 v5, v5                                       // 000000007F80: 7E0A4505
	v_rcp_f32_e32 v6, v6                                       // 000000007F84: 7E0C4506
	v_rcp_f32_e32 v7, v7                                       // 000000007F88: 7E0E4507
	v_mul_f32_e32 v76, v76, v4                                 // 000000007F8C: 0A98094C
	v_mul_f32_e32 v77, v77, v5                                 // 000000007F90: 0A9A0B4D
	v_mul_f32_e32 v78, v78, v6                                 // 000000007F94: 0A9C0D4E
	v_mul_f32_e32 v79, v79, v7                                 // 000000007F98: 0A9E0F4F
	v_mul_f32_e32 v76, v76, v108                               // 000000007F9C: 0A98D94C
	v_mul_f32_e32 v77, v77, v109                               // 000000007FA0: 0A9ADB4D
	v_mul_f32_e32 v78, v78, v110                               // 000000007FA4: 0A9CDD4E
	v_mul_f32_e32 v79, v79, v111                               // 000000007FA8: 0A9EDF4F
	s_branch label_166F                                        // 000000007FAC: BF820100

0000000000007fb0 <label_156F>:
	v_mul_f32_e64 v4, -v48, s6                                 // 000000007FB0: D1050004 20000D30
	v_mul_f32_e64 v5, -v49, s6                                 // 000000007FB8: D1050005 20000D31
	v_mul_f32_e64 v6, -v50, s6                                 // 000000007FC0: D1050006 20000D32
	v_mul_f32_e64 v7, -v51, s6                                 // 000000007FC8: D1050007 20000D33
	v_exp_f32_e32 v4, v4                                       // 000000007FD0: 7E084104
	v_exp_f32_e32 v5, v5                                       // 000000007FD4: 7E0A4105
	v_exp_f32_e32 v6, v6                                       // 000000007FD8: 7E0C4106
	v_exp_f32_e32 v7, v7                                       // 000000007FDC: 7E0E4107
	v_add_f32_e64 v4, v4, 1.0                                  // 000000007FE0: D1010004 0001E504
	v_add_f32_e64 v5, v5, 1.0                                  // 000000007FE8: D1010005 0001E505
	v_add_f32_e64 v6, v6, 1.0                                  // 000000007FF0: D1010006 0001E506
	v_add_f32_e64 v7, v7, 1.0                                  // 000000007FF8: D1010007 0001E507
	v_rcp_f32_e32 v4, v4                                       // 000000008000: 7E084504
	v_rcp_f32_e32 v5, v5                                       // 000000008004: 7E0A4505
	v_rcp_f32_e32 v6, v6                                       // 000000008008: 7E0C4506
	v_rcp_f32_e32 v7, v7                                       // 00000000800C: 7E0E4507
	v_mul_f32_e32 v48, v48, v4                                 // 000000008010: 0A600930
	v_mul_f32_e32 v49, v49, v5                                 // 000000008014: 0A620B31
	v_mul_f32_e32 v50, v50, v6                                 // 000000008018: 0A640D32
	v_mul_f32_e32 v51, v51, v7                                 // 00000000801C: 0A660F33
	v_mul_f32_e32 v48, v48, v80                                // 000000008020: 0A60A130
	v_mul_f32_e32 v49, v49, v81                                // 000000008024: 0A62A331
	v_mul_f32_e32 v50, v50, v82                                // 000000008028: 0A64A532
	v_mul_f32_e32 v51, v51, v83                                // 00000000802C: 0A66A733
	v_mul_f32_e64 v4, -v52, s6                                 // 000000008030: D1050004 20000D34
	v_mul_f32_e64 v5, -v53, s6                                 // 000000008038: D1050005 20000D35
	v_mul_f32_e64 v6, -v54, s6                                 // 000000008040: D1050006 20000D36
	v_mul_f32_e64 v7, -v55, s6                                 // 000000008048: D1050007 20000D37
	v_exp_f32_e32 v4, v4                                       // 000000008050: 7E084104
	v_exp_f32_e32 v5, v5                                       // 000000008054: 7E0A4105
	v_exp_f32_e32 v6, v6                                       // 000000008058: 7E0C4106
	v_exp_f32_e32 v7, v7                                       // 00000000805C: 7E0E4107
	v_add_f32_e64 v4, v4, 1.0                                  // 000000008060: D1010004 0001E504
	v_add_f32_e64 v5, v5, 1.0                                  // 000000008068: D1010005 0001E505
	v_add_f32_e64 v6, v6, 1.0                                  // 000000008070: D1010006 0001E506
	v_add_f32_e64 v7, v7, 1.0                                  // 000000008078: D1010007 0001E507
	v_rcp_f32_e32 v4, v4                                       // 000000008080: 7E084504
	v_rcp_f32_e32 v5, v5                                       // 000000008084: 7E0A4505
	v_rcp_f32_e32 v6, v6                                       // 000000008088: 7E0C4506
	v_rcp_f32_e32 v7, v7                                       // 00000000808C: 7E0E4507
	v_mul_f32_e32 v52, v52, v4                                 // 000000008090: 0A680934
	v_mul_f32_e32 v53, v53, v5                                 // 000000008094: 0A6A0B35
	v_mul_f32_e32 v54, v54, v6                                 // 000000008098: 0A6C0D36
	v_mul_f32_e32 v55, v55, v7                                 // 00000000809C: 0A6E0F37
	v_mul_f32_e32 v52, v52, v84                                // 0000000080A0: 0A68A934
	v_mul_f32_e32 v53, v53, v85                                // 0000000080A4: 0A6AAB35
	v_mul_f32_e32 v54, v54, v86                                // 0000000080A8: 0A6CAD36
	v_mul_f32_e32 v55, v55, v87                                // 0000000080AC: 0A6EAF37
	v_mul_f32_e64 v4, -v56, s6                                 // 0000000080B0: D1050004 20000D38
	v_mul_f32_e64 v5, -v57, s6                                 // 0000000080B8: D1050005 20000D39
	v_mul_f32_e64 v6, -v58, s6                                 // 0000000080C0: D1050006 20000D3A
	v_mul_f32_e64 v7, -v59, s6                                 // 0000000080C8: D1050007 20000D3B
	v_exp_f32_e32 v4, v4                                       // 0000000080D0: 7E084104
	v_exp_f32_e32 v5, v5                                       // 0000000080D4: 7E0A4105
	v_exp_f32_e32 v6, v6                                       // 0000000080D8: 7E0C4106
	v_exp_f32_e32 v7, v7                                       // 0000000080DC: 7E0E4107
	v_add_f32_e64 v4, v4, 1.0                                  // 0000000080E0: D1010004 0001E504
	v_add_f32_e64 v5, v5, 1.0                                  // 0000000080E8: D1010005 0001E505
	v_add_f32_e64 v6, v6, 1.0                                  // 0000000080F0: D1010006 0001E506
	v_add_f32_e64 v7, v7, 1.0                                  // 0000000080F8: D1010007 0001E507
	v_rcp_f32_e32 v4, v4                                       // 000000008100: 7E084504
	v_rcp_f32_e32 v5, v5                                       // 000000008104: 7E0A4505
	v_rcp_f32_e32 v6, v6                                       // 000000008108: 7E0C4506
	v_rcp_f32_e32 v7, v7                                       // 00000000810C: 7E0E4507
	v_mul_f32_e32 v56, v56, v4                                 // 000000008110: 0A700938
	v_mul_f32_e32 v57, v57, v5                                 // 000000008114: 0A720B39
	v_mul_f32_e32 v58, v58, v6                                 // 000000008118: 0A740D3A
	v_mul_f32_e32 v59, v59, v7                                 // 00000000811C: 0A760F3B
	v_mul_f32_e32 v56, v56, v88                                // 000000008120: 0A70B138
	v_mul_f32_e32 v57, v57, v89                                // 000000008124: 0A72B339
	v_mul_f32_e32 v58, v58, v90                                // 000000008128: 0A74B53A
	v_mul_f32_e32 v59, v59, v91                                // 00000000812C: 0A76B73B
	v_mul_f32_e64 v4, -v60, s6                                 // 000000008130: D1050004 20000D3C
	v_mul_f32_e64 v5, -v61, s6                                 // 000000008138: D1050005 20000D3D
	v_mul_f32_e64 v6, -v62, s6                                 // 000000008140: D1050006 20000D3E
	v_mul_f32_e64 v7, -v63, s6                                 // 000000008148: D1050007 20000D3F
	v_exp_f32_e32 v4, v4                                       // 000000008150: 7E084104
	v_exp_f32_e32 v5, v5                                       // 000000008154: 7E0A4105
	v_exp_f32_e32 v6, v6                                       // 000000008158: 7E0C4106
	v_exp_f32_e32 v7, v7                                       // 00000000815C: 7E0E4107
	v_add_f32_e64 v4, v4, 1.0                                  // 000000008160: D1010004 0001E504
	v_add_f32_e64 v5, v5, 1.0                                  // 000000008168: D1010005 0001E505
	v_add_f32_e64 v6, v6, 1.0                                  // 000000008170: D1010006 0001E506
	v_add_f32_e64 v7, v7, 1.0                                  // 000000008178: D1010007 0001E507
	v_rcp_f32_e32 v4, v4                                       // 000000008180: 7E084504
	v_rcp_f32_e32 v5, v5                                       // 000000008184: 7E0A4505
	v_rcp_f32_e32 v6, v6                                       // 000000008188: 7E0C4506
	v_rcp_f32_e32 v7, v7                                       // 00000000818C: 7E0E4507
	v_mul_f32_e32 v60, v60, v4                                 // 000000008190: 0A78093C
	v_mul_f32_e32 v61, v61, v5                                 // 000000008194: 0A7A0B3D
	v_mul_f32_e32 v62, v62, v6                                 // 000000008198: 0A7C0D3E
	v_mul_f32_e32 v63, v63, v7                                 // 00000000819C: 0A7E0F3F
	v_mul_f32_e32 v60, v60, v92                                // 0000000081A0: 0A78B93C
	v_mul_f32_e32 v61, v61, v93                                // 0000000081A4: 0A7ABB3D
	v_mul_f32_e32 v62, v62, v94                                // 0000000081A8: 0A7CBD3E
	v_mul_f32_e32 v63, v63, v95                                // 0000000081AC: 0A7EBF3F
	v_mul_f32_e64 v4, -v64, s6                                 // 0000000081B0: D1050004 20000D40
	v_mul_f32_e64 v5, -v65, s6                                 // 0000000081B8: D1050005 20000D41
	v_mul_f32_e64 v6, -v66, s6                                 // 0000000081C0: D1050006 20000D42
	v_mul_f32_e64 v7, -v67, s6                                 // 0000000081C8: D1050007 20000D43
	v_exp_f32_e32 v4, v4                                       // 0000000081D0: 7E084104
	v_exp_f32_e32 v5, v5                                       // 0000000081D4: 7E0A4105
	v_exp_f32_e32 v6, v6                                       // 0000000081D8: 7E0C4106
	v_exp_f32_e32 v7, v7                                       // 0000000081DC: 7E0E4107
	v_add_f32_e64 v4, v4, 1.0                                  // 0000000081E0: D1010004 0001E504
	v_add_f32_e64 v5, v5, 1.0                                  // 0000000081E8: D1010005 0001E505
	v_add_f32_e64 v6, v6, 1.0                                  // 0000000081F0: D1010006 0001E506
	v_add_f32_e64 v7, v7, 1.0                                  // 0000000081F8: D1010007 0001E507
	v_rcp_f32_e32 v4, v4                                       // 000000008200: 7E084504
	v_rcp_f32_e32 v5, v5                                       // 000000008204: 7E0A4505
	v_rcp_f32_e32 v6, v6                                       // 000000008208: 7E0C4506
	v_rcp_f32_e32 v7, v7                                       // 00000000820C: 7E0E4507
	v_mul_f32_e32 v64, v64, v4                                 // 000000008210: 0A800940
	v_mul_f32_e32 v65, v65, v5                                 // 000000008214: 0A820B41
	v_mul_f32_e32 v66, v66, v6                                 // 000000008218: 0A840D42
	v_mul_f32_e32 v67, v67, v7                                 // 00000000821C: 0A860F43
	v_mul_f32_e32 v64, v64, v96                                // 000000008220: 0A80C140
	v_mul_f32_e32 v65, v65, v97                                // 000000008224: 0A82C341
	v_mul_f32_e32 v66, v66, v98                                // 000000008228: 0A84C542
	v_mul_f32_e32 v67, v67, v99                                // 00000000822C: 0A86C743
	v_mul_f32_e64 v4, -v68, s6                                 // 000000008230: D1050004 20000D44
	v_mul_f32_e64 v5, -v69, s6                                 // 000000008238: D1050005 20000D45
	v_mul_f32_e64 v6, -v70, s6                                 // 000000008240: D1050006 20000D46
	v_mul_f32_e64 v7, -v71, s6                                 // 000000008248: D1050007 20000D47
	v_exp_f32_e32 v4, v4                                       // 000000008250: 7E084104
	v_exp_f32_e32 v5, v5                                       // 000000008254: 7E0A4105
	v_exp_f32_e32 v6, v6                                       // 000000008258: 7E0C4106
	v_exp_f32_e32 v7, v7                                       // 00000000825C: 7E0E4107
	v_add_f32_e64 v4, v4, 1.0                                  // 000000008260: D1010004 0001E504
	v_add_f32_e64 v5, v5, 1.0                                  // 000000008268: D1010005 0001E505
	v_add_f32_e64 v6, v6, 1.0                                  // 000000008270: D1010006 0001E506
	v_add_f32_e64 v7, v7, 1.0                                  // 000000008278: D1010007 0001E507
	v_rcp_f32_e32 v4, v4                                       // 000000008280: 7E084504
	v_rcp_f32_e32 v5, v5                                       // 000000008284: 7E0A4505
	v_rcp_f32_e32 v6, v6                                       // 000000008288: 7E0C4506
	v_rcp_f32_e32 v7, v7                                       // 00000000828C: 7E0E4507
	v_mul_f32_e32 v68, v68, v4                                 // 000000008290: 0A880944
	v_mul_f32_e32 v69, v69, v5                                 // 000000008294: 0A8A0B45
	v_mul_f32_e32 v70, v70, v6                                 // 000000008298: 0A8C0D46
	v_mul_f32_e32 v71, v71, v7                                 // 00000000829C: 0A8E0F47
	v_mul_f32_e32 v68, v68, v100                               // 0000000082A0: 0A88C944
	v_mul_f32_e32 v69, v69, v101                               // 0000000082A4: 0A8ACB45
	v_mul_f32_e32 v70, v70, v102                               // 0000000082A8: 0A8CCD46
	v_mul_f32_e32 v71, v71, v103                               // 0000000082AC: 0A8ECF47
	v_mul_f32_e64 v4, -v72, s6                                 // 0000000082B0: D1050004 20000D48
	v_mul_f32_e64 v5, -v73, s6                                 // 0000000082B8: D1050005 20000D49
	v_mul_f32_e64 v6, -v74, s6                                 // 0000000082C0: D1050006 20000D4A
	v_mul_f32_e64 v7, -v75, s6                                 // 0000000082C8: D1050007 20000D4B
	v_exp_f32_e32 v4, v4                                       // 0000000082D0: 7E084104
	v_exp_f32_e32 v5, v5                                       // 0000000082D4: 7E0A4105
	v_exp_f32_e32 v6, v6                                       // 0000000082D8: 7E0C4106
	v_exp_f32_e32 v7, v7                                       // 0000000082DC: 7E0E4107
	v_add_f32_e64 v4, v4, 1.0                                  // 0000000082E0: D1010004 0001E504
	v_add_f32_e64 v5, v5, 1.0                                  // 0000000082E8: D1010005 0001E505
	v_add_f32_e64 v6, v6, 1.0                                  // 0000000082F0: D1010006 0001E506
	v_add_f32_e64 v7, v7, 1.0                                  // 0000000082F8: D1010007 0001E507
	v_rcp_f32_e32 v4, v4                                       // 000000008300: 7E084504
	v_rcp_f32_e32 v5, v5                                       // 000000008304: 7E0A4505
	v_rcp_f32_e32 v6, v6                                       // 000000008308: 7E0C4506
	v_rcp_f32_e32 v7, v7                                       // 00000000830C: 7E0E4507
	v_mul_f32_e32 v72, v72, v4                                 // 000000008310: 0A900948
	v_mul_f32_e32 v73, v73, v5                                 // 000000008314: 0A920B49
	v_mul_f32_e32 v74, v74, v6                                 // 000000008318: 0A940D4A
	v_mul_f32_e32 v75, v75, v7                                 // 00000000831C: 0A960F4B
	v_mul_f32_e32 v72, v72, v104                               // 000000008320: 0A90D148
	v_mul_f32_e32 v73, v73, v105                               // 000000008324: 0A92D349
	v_mul_f32_e32 v74, v74, v106                               // 000000008328: 0A94D54A
	v_mul_f32_e32 v75, v75, v107                               // 00000000832C: 0A96D74B
	v_mul_f32_e64 v4, -v76, s6                                 // 000000008330: D1050004 20000D4C
	v_mul_f32_e64 v5, -v77, s6                                 // 000000008338: D1050005 20000D4D
	v_mul_f32_e64 v6, -v78, s6                                 // 000000008340: D1050006 20000D4E
	v_mul_f32_e64 v7, -v79, s6                                 // 000000008348: D1050007 20000D4F
	v_exp_f32_e32 v4, v4                                       // 000000008350: 7E084104
	v_exp_f32_e32 v5, v5                                       // 000000008354: 7E0A4105
	v_exp_f32_e32 v6, v6                                       // 000000008358: 7E0C4106
	v_exp_f32_e32 v7, v7                                       // 00000000835C: 7E0E4107
	v_add_f32_e64 v4, v4, 1.0                                  // 000000008360: D1010004 0001E504
	v_add_f32_e64 v5, v5, 1.0                                  // 000000008368: D1010005 0001E505
	v_add_f32_e64 v6, v6, 1.0                                  // 000000008370: D1010006 0001E506
	v_add_f32_e64 v7, v7, 1.0                                  // 000000008378: D1010007 0001E507
	v_rcp_f32_e32 v4, v4                                       // 000000008380: 7E084504
	v_rcp_f32_e32 v5, v5                                       // 000000008384: 7E0A4505
	v_rcp_f32_e32 v6, v6                                       // 000000008388: 7E0C4506
	v_rcp_f32_e32 v7, v7                                       // 00000000838C: 7E0E4507
	v_mul_f32_e32 v76, v76, v4                                 // 000000008390: 0A98094C
	v_mul_f32_e32 v77, v77, v5                                 // 000000008394: 0A9A0B4D
	v_mul_f32_e32 v78, v78, v6                                 // 000000008398: 0A9C0D4E
	v_mul_f32_e32 v79, v79, v7                                 // 00000000839C: 0A9E0F4F
	v_mul_f32_e32 v76, v76, v108                               // 0000000083A0: 0A98D94C
	v_mul_f32_e32 v77, v77, v109                               // 0000000083A4: 0A9ADB4D
	v_mul_f32_e32 v78, v78, v110                               // 0000000083A8: 0A9CDD4E
	v_mul_f32_e32 v79, v79, v111                               // 0000000083AC: 0A9EDF4F

00000000000083b0 <label_166F>:
	v_cmp_u_f32_e64 s[46:47], v48, v48                         // 0000000083B0: D048002E 00026130
	v_add3_u32 v16, v48, v19, 1                                // 0000000083B8: D1FF0010 02062730
	v_cndmask_b32_e64 v4, v16, v18, s[46:47]                   // 0000000083C0: D1000004 00BA2510
	v_cmp_u_f32_e64 s[46:47], v49, v49                         // 0000000083C8: D048002E 00026331
	v_add3_u32 v16, v49, v19, 1                                // 0000000083D0: D1FF0010 02062731
	v_cndmask_b32_e64 v5, v16, v18, s[46:47]                   // 0000000083D8: D1000005 00BA2510
	v_perm_b32 v48, v5, v4, s52                                // 0000000083E0: D1ED0030 00D20905
	v_cmp_u_f32_e64 s[46:47], v50, v50                         // 0000000083E8: D048002E 00026532
	v_add3_u32 v16, v50, v19, 1                                // 0000000083F0: D1FF0010 02062732
	v_cndmask_b32_e64 v4, v16, v18, s[46:47]                   // 0000000083F8: D1000004 00BA2510
	v_cmp_u_f32_e64 s[46:47], v51, v51                         // 000000008400: D048002E 00026733
	v_add3_u32 v16, v51, v19, 1                                // 000000008408: D1FF0010 02062733
	v_cndmask_b32_e64 v5, v16, v18, s[46:47]                   // 000000008410: D1000005 00BA2510
	v_perm_b32 v49, v5, v4, s52                                // 000000008418: D1ED0031 00D20905
	v_cmp_u_f32_e64 s[46:47], v52, v52                         // 000000008420: D048002E 00026934
	v_add3_u32 v16, v52, v19, 1                                // 000000008428: D1FF0010 02062734
	v_cndmask_b32_e64 v4, v16, v18, s[46:47]                   // 000000008430: D1000004 00BA2510
	v_cmp_u_f32_e64 s[46:47], v53, v53                         // 000000008438: D048002E 00026B35
	v_add3_u32 v16, v53, v19, 1                                // 000000008440: D1FF0010 02062735
	v_cndmask_b32_e64 v5, v16, v18, s[46:47]                   // 000000008448: D1000005 00BA2510
	v_perm_b32 v50, v5, v4, s52                                // 000000008450: D1ED0032 00D20905
	v_cmp_u_f32_e64 s[46:47], v54, v54                         // 000000008458: D048002E 00026D36
	v_add3_u32 v16, v54, v19, 1                                // 000000008460: D1FF0010 02062736
	v_cndmask_b32_e64 v4, v16, v18, s[46:47]                   // 000000008468: D1000004 00BA2510
	v_cmp_u_f32_e64 s[46:47], v55, v55                         // 000000008470: D048002E 00026F37
	v_add3_u32 v16, v55, v19, 1                                // 000000008478: D1FF0010 02062737
	v_cndmask_b32_e64 v5, v16, v18, s[46:47]                   // 000000008480: D1000005 00BA2510
	v_perm_b32 v51, v5, v4, s52                                // 000000008488: D1ED0033 00D20905
	v_cmp_u_f32_e64 s[46:47], v56, v56                         // 000000008490: D048002E 00027138
	v_add3_u32 v16, v56, v19, 1                                // 000000008498: D1FF0010 02062738
	v_cndmask_b32_e64 v4, v16, v18, s[46:47]                   // 0000000084A0: D1000004 00BA2510
	v_cmp_u_f32_e64 s[46:47], v57, v57                         // 0000000084A8: D048002E 00027339
	v_add3_u32 v16, v57, v19, 1                                // 0000000084B0: D1FF0010 02062739
	v_cndmask_b32_e64 v5, v16, v18, s[46:47]                   // 0000000084B8: D1000005 00BA2510
	v_perm_b32 v52, v5, v4, s52                                // 0000000084C0: D1ED0034 00D20905
	v_cmp_u_f32_e64 s[46:47], v58, v58                         // 0000000084C8: D048002E 0002753A
	v_add3_u32 v16, v58, v19, 1                                // 0000000084D0: D1FF0010 0206273A
	v_cndmask_b32_e64 v4, v16, v18, s[46:47]                   // 0000000084D8: D1000004 00BA2510
	v_cmp_u_f32_e64 s[46:47], v59, v59                         // 0000000084E0: D048002E 0002773B
	v_add3_u32 v16, v59, v19, 1                                // 0000000084E8: D1FF0010 0206273B
	v_cndmask_b32_e64 v5, v16, v18, s[46:47]                   // 0000000084F0: D1000005 00BA2510
	v_perm_b32 v53, v5, v4, s52                                // 0000000084F8: D1ED0035 00D20905
	v_cmp_u_f32_e64 s[46:47], v60, v60                         // 000000008500: D048002E 0002793C
	v_add3_u32 v16, v60, v19, 1                                // 000000008508: D1FF0010 0206273C
	v_cndmask_b32_e64 v4, v16, v18, s[46:47]                   // 000000008510: D1000004 00BA2510
	v_cmp_u_f32_e64 s[46:47], v61, v61                         // 000000008518: D048002E 00027B3D
	v_add3_u32 v16, v61, v19, 1                                // 000000008520: D1FF0010 0206273D
	v_cndmask_b32_e64 v5, v16, v18, s[46:47]                   // 000000008528: D1000005 00BA2510
	v_perm_b32 v54, v5, v4, s52                                // 000000008530: D1ED0036 00D20905
	v_cmp_u_f32_e64 s[46:47], v62, v62                         // 000000008538: D048002E 00027D3E
	v_add3_u32 v16, v62, v19, 1                                // 000000008540: D1FF0010 0206273E
	v_cndmask_b32_e64 v4, v16, v18, s[46:47]                   // 000000008548: D1000004 00BA2510
	v_cmp_u_f32_e64 s[46:47], v63, v63                         // 000000008550: D048002E 00027F3F
	v_add3_u32 v16, v63, v19, 1                                // 000000008558: D1FF0010 0206273F
	v_cndmask_b32_e64 v5, v16, v18, s[46:47]                   // 000000008560: D1000005 00BA2510
	v_perm_b32 v55, v5, v4, s52                                // 000000008568: D1ED0037 00D20905
	v_cmp_u_f32_e64 s[46:47], v64, v64                         // 000000008570: D048002E 00028140
	v_add3_u32 v16, v64, v19, 1                                // 000000008578: D1FF0010 02062740
	v_cndmask_b32_e64 v4, v16, v18, s[46:47]                   // 000000008580: D1000004 00BA2510
	v_cmp_u_f32_e64 s[46:47], v65, v65                         // 000000008588: D048002E 00028341
	v_add3_u32 v16, v65, v19, 1                                // 000000008590: D1FF0010 02062741
	v_cndmask_b32_e64 v5, v16, v18, s[46:47]                   // 000000008598: D1000005 00BA2510
	v_perm_b32 v56, v5, v4, s52                                // 0000000085A0: D1ED0038 00D20905
	v_cmp_u_f32_e64 s[46:47], v66, v66                         // 0000000085A8: D048002E 00028542
	v_add3_u32 v16, v66, v19, 1                                // 0000000085B0: D1FF0010 02062742
	v_cndmask_b32_e64 v4, v16, v18, s[46:47]                   // 0000000085B8: D1000004 00BA2510
	v_cmp_u_f32_e64 s[46:47], v67, v67                         // 0000000085C0: D048002E 00028743
	v_add3_u32 v16, v67, v19, 1                                // 0000000085C8: D1FF0010 02062743
	v_cndmask_b32_e64 v5, v16, v18, s[46:47]                   // 0000000085D0: D1000005 00BA2510
	v_perm_b32 v57, v5, v4, s52                                // 0000000085D8: D1ED0039 00D20905
	v_cmp_u_f32_e64 s[46:47], v68, v68                         // 0000000085E0: D048002E 00028944
	v_add3_u32 v16, v68, v19, 1                                // 0000000085E8: D1FF0010 02062744
	v_cndmask_b32_e64 v4, v16, v18, s[46:47]                   // 0000000085F0: D1000004 00BA2510
	v_cmp_u_f32_e64 s[46:47], v69, v69                         // 0000000085F8: D048002E 00028B45
	v_add3_u32 v16, v69, v19, 1                                // 000000008600: D1FF0010 02062745
	v_cndmask_b32_e64 v5, v16, v18, s[46:47]                   // 000000008608: D1000005 00BA2510
	v_perm_b32 v58, v5, v4, s52                                // 000000008610: D1ED003A 00D20905
	v_cmp_u_f32_e64 s[46:47], v70, v70                         // 000000008618: D048002E 00028D46
	v_add3_u32 v16, v70, v19, 1                                // 000000008620: D1FF0010 02062746
	v_cndmask_b32_e64 v4, v16, v18, s[46:47]                   // 000000008628: D1000004 00BA2510
	v_cmp_u_f32_e64 s[46:47], v71, v71                         // 000000008630: D048002E 00028F47
	v_add3_u32 v16, v71, v19, 1                                // 000000008638: D1FF0010 02062747
	v_cndmask_b32_e64 v5, v16, v18, s[46:47]                   // 000000008640: D1000005 00BA2510
	v_perm_b32 v59, v5, v4, s52                                // 000000008648: D1ED003B 00D20905
	v_cmp_u_f32_e64 s[46:47], v72, v72                         // 000000008650: D048002E 00029148
	v_add3_u32 v16, v72, v19, 1                                // 000000008658: D1FF0010 02062748
	v_cndmask_b32_e64 v4, v16, v18, s[46:47]                   // 000000008660: D1000004 00BA2510
	v_cmp_u_f32_e64 s[46:47], v73, v73                         // 000000008668: D048002E 00029349
	v_add3_u32 v16, v73, v19, 1                                // 000000008670: D1FF0010 02062749
	v_cndmask_b32_e64 v5, v16, v18, s[46:47]                   // 000000008678: D1000005 00BA2510
	v_perm_b32 v60, v5, v4, s52                                // 000000008680: D1ED003C 00D20905
	v_cmp_u_f32_e64 s[46:47], v74, v74                         // 000000008688: D048002E 0002954A
	v_add3_u32 v16, v74, v19, 1                                // 000000008690: D1FF0010 0206274A
	v_cndmask_b32_e64 v4, v16, v18, s[46:47]                   // 000000008698: D1000004 00BA2510
	v_cmp_u_f32_e64 s[46:47], v75, v75                         // 0000000086A0: D048002E 0002974B
	v_add3_u32 v16, v75, v19, 1                                // 0000000086A8: D1FF0010 0206274B
	v_cndmask_b32_e64 v5, v16, v18, s[46:47]                   // 0000000086B0: D1000005 00BA2510
	v_perm_b32 v61, v5, v4, s52                                // 0000000086B8: D1ED003D 00D20905
	v_cmp_u_f32_e64 s[46:47], v76, v76                         // 0000000086C0: D048002E 0002994C
	v_add3_u32 v16, v76, v19, 1                                // 0000000086C8: D1FF0010 0206274C
	v_cndmask_b32_e64 v4, v16, v18, s[46:47]                   // 0000000086D0: D1000004 00BA2510
	v_cmp_u_f32_e64 s[46:47], v77, v77                         // 0000000086D8: D048002E 00029B4D
	v_add3_u32 v16, v77, v19, 1                                // 0000000086E0: D1FF0010 0206274D
	v_cndmask_b32_e64 v5, v16, v18, s[46:47]                   // 0000000086E8: D1000005 00BA2510
	v_perm_b32 v62, v5, v4, s52                                // 0000000086F0: D1ED003E 00D20905
	v_cmp_u_f32_e64 s[46:47], v78, v78                         // 0000000086F8: D048002E 00029D4E
	v_add3_u32 v16, v78, v19, 1                                // 000000008700: D1FF0010 0206274E
	v_cndmask_b32_e64 v4, v16, v18, s[46:47]                   // 000000008708: D1000004 00BA2510
	v_cmp_u_f32_e64 s[46:47], v79, v79                         // 000000008710: D048002E 00029F4F
	v_add3_u32 v16, v79, v19, 1                                // 000000008718: D1FF0010 0206274F
	v_cndmask_b32_e64 v5, v16, v18, s[46:47]                   // 000000008720: D1000005 00BA2510
	v_perm_b32 v63, v5, v4, s52                                // 000000008728: D1ED003F 00D20905
	ds_write_b64 v20, v[48:49]                                 // 000000008730: D89A0000 00003014
	ds_write_b64 v20, v[50:51] offset:2176                     // 000000008738: D89A0880 00003214
	ds_write_b64 v20, v[52:53] offset:4352                     // 000000008740: D89A1100 00003414
	ds_write_b64 v20, v[54:55] offset:6528                     // 000000008748: D89A1980 00003614
	ds_write_b64 v20, v[56:57] offset:8704                     // 000000008750: D89A2200 00003814
	ds_write_b64 v20, v[58:59] offset:10880                    // 000000008758: D89A2A80 00003A14
	ds_write_b64 v20, v[60:61] offset:13056                    // 000000008760: D89A3300 00003C14
	ds_write_b64 v20, v[62:63] offset:15232                    // 000000008768: D89A3B80 00003E14
	v_lshrrev_b32_e32 v4, 5, v0                                // 000000008770: 20080085
	v_xor_b32_e32 v5, 1, v4                                    // 000000008774: 2A0A0881
	s_mul_i32 s60, s65, 2                                      // 000000008778: 923C8241
	s_cmp_eq_u32 s88, 0                                        // 00000000877C: BF068058
	s_cselect_b32 s61, 1, 4                                    // 000000008780: 853D8481
	s_mul_i32 s60, s61, s60                                    // 000000008784: 923C3C3D
	v_readlane_b32 s82, v3, 0                                  // 000000008788: D2890052 00010103
	s_lshr_b32 s61, s82, 24                                    // 000000008790: 8F3D9852
	s_and_b32 s82, s82, 0xffffff                               // 000000008794: 8652FF52 00FFFFFF
	s_mul_i32 s82, s82, s71                                    // 00000000879C: 92524752
	s_mul_i32 s61, s60, s61                                    // 0000000087A0: 923D3D3C
	s_add_u32 s82, s82, s61                                    // 0000000087A4: 80523D52
	v_mul_lo_u32 v6, v5, s82                                   // 0000000087A8: D2850006 0000A505
	v_readlane_b32 s82, v3, 1                                  // 0000000087B0: D2890052 00010303
	s_lshr_b32 s61, s82, 24                                    // 0000000087B8: 8F3D9852
	s_and_b32 s82, s82, 0xffffff                               // 0000000087BC: 8652FF52 00FFFFFF
	s_mul_i32 s82, s82, s71                                    // 0000000087C4: 92524752
	s_mul_i32 s61, s60, s61                                    // 0000000087C8: 923D3D3C
	s_add_u32 s82, s82, s61                                    // 0000000087CC: 80523D52
	v_mul_lo_u32 v7, v4, s82                                   // 0000000087D0: D2850007 0000A504
	v_add_u32_e32 v35, v6, v7                                  // 0000000087D8: 68460F06
	v_readlane_b32 s82, v3, 2                                  // 0000000087DC: D2890052 00010503
	s_lshr_b32 s61, s82, 24                                    // 0000000087E4: 8F3D9852
	s_and_b32 s82, s82, 0xffffff                               // 0000000087E8: 8652FF52 00FFFFFF
	s_mul_i32 s82, s82, s71                                    // 0000000087F0: 92524752
	s_mul_i32 s61, s60, s61                                    // 0000000087F4: 923D3D3C
	s_add_u32 s82, s82, s61                                    // 0000000087F8: 80523D52
	v_mul_lo_u32 v6, v5, s82                                   // 0000000087FC: D2850006 0000A505
	v_readlane_b32 s82, v3, 3                                  // 000000008804: D2890052 00010703
	s_lshr_b32 s61, s82, 24                                    // 00000000880C: 8F3D9852
	s_and_b32 s82, s82, 0xffffff                               // 000000008810: 8652FF52 00FFFFFF
	s_mul_i32 s82, s82, s71                                    // 000000008818: 92524752
	s_mul_i32 s61, s60, s61                                    // 00000000881C: 923D3D3C
	s_add_u32 s82, s82, s61                                    // 000000008820: 80523D52
	v_mul_lo_u32 v7, v4, s82                                   // 000000008824: D2850007 0000A504
	v_add_u32_e32 v36, v6, v7                                  // 00000000882C: 68480F06
	v_and_b32_e32 v4, 31, v0                                   // 000000008830: 2608009F
	v_lshrrev_b32_e32 v4, 1, v4                                // 000000008834: 20080881
	s_cmp_eq_u32 s88, 0                                        // 000000008838: BF068058
	s_cselect_b32 s61, 2, 4                                    // 00000000883C: 853D8482
	v_mul_lo_u32 v4, v4, s61                                   // 000000008840: D2850004 00007B04
	v_and_b32_e64 v5, v0, 1                                    // 000000008848: D1130005 00010300
	v_add_u32_e32 v4, v4, v5                                   // 000000008850: 68080B04
	v_lshlrev_b32_e32 v4, 2, v4                                // 000000008854: 24080882
	v_add_u32_e32 v35, v35, v4                                 // 000000008858: 68460923
	v_add_u32_e32 v36, v36, v4                                 // 00000000885C: 68480924
	s_waitcnt lgkmcnt(0)                                       // 000000008860: BF8CC07F
	s_barrier                                                  // 000000008864: BF8A0000
	ds_read_b32 v48, v21                                       // 000000008868: D86C0000 30000015
	ds_read_b32 v49, v21 offset:64                             // 000000008870: D86C0040 31000015
	ds_read_b32 v50, v21 offset:2176                           // 000000008878: D86C0880 32000015
	ds_read_b32 v51, v21 offset:2240                           // 000000008880: D86C08C0 33000015
	ds_read_b32 v52, v21 offset:4352                           // 000000008888: D86C1100 34000015
	ds_read_b32 v53, v21 offset:4416                           // 000000008890: D86C1140 35000015
	ds_read_b32 v54, v21 offset:6528                           // 000000008898: D86C1980 36000015
	ds_read_b32 v55, v21 offset:6592                           // 0000000088A0: D86C19C0 37000015
	ds_read_b32 v56, v21 offset:8704                           // 0000000088A8: D86C2200 38000015
	ds_read_b32 v57, v21 offset:8768                           // 0000000088B0: D86C2240 39000015
	ds_read_b32 v58, v21 offset:10880                          // 0000000088B8: D86C2A80 3A000015
	ds_read_b32 v59, v21 offset:10944                          // 0000000088C0: D86C2AC0 3B000015
	ds_read_b32 v60, v21 offset:13056                          // 0000000088C8: D86C3300 3C000015
	ds_read_b32 v61, v21 offset:13120                          // 0000000088D0: D86C3340 3D000015
	ds_read_b32 v62, v21 offset:15232                          // 0000000088D8: D86C3B80 3E000015
	ds_read_b32 v63, v21 offset:15296                          // 0000000088E0: D86C3BC0 3F000015
	s_waitcnt lgkmcnt(0)                                       // 0000000088E8: BF8CC07F
	s_mov_b32 s36, -1                                          // 0000000088EC: BEA400C1
	s_mov_b32 s37, -1                                          // 0000000088F0: BEA500C1
	v_mov_b32_e32 v7, 0                                        // 0000000088F4: 7E0E0280
	s_or_b32 s9, s9, 0x40000                                   // 0000000088F8: 8709FF09 00040000
	s_mov_b64 exec, s[36:37]                                   // 000000008900: BEFE0124
	v_mov_b32_e32 v6, v35                                      // 000000008904: 7E0C0323
	s_mov_b64 s[60:61], 0                                      // 000000008908: BEBC0180
	v_readlane_b32 s82, v3, 0                                  // 00000000890C: D2890052 00010103
	s_and_b32 s82, s82, 0xffffff                               // 000000008914: 8652FF52 00FFFFFF
	s_cmp_lt_u32 s82, s66                                      // 00000000891C: BF0A4252
	s_cselect_b32 s20, s36, s60                                // 000000008920: 85143C24
	v_readlane_b32 s82, v3, 1                                  // 000000008924: D2890052 00010303
	s_and_b32 s82, s82, 0xffffff                               // 00000000892C: 8652FF52 00FFFFFF
	s_cmp_lt_u32 s82, s66                                      // 000000008934: BF0A4252
	s_cselect_b32 s21, s36, s60                                // 000000008938: 85153C24
	s_mov_b64 exec, s[20:21]                                   // 00000000893C: BEFE0114
	buffer_store_dword v48, v6, s[8:11], 0 offen               // 000000008940: E0701000 80023006
	buffer_store_dword v50, v6, s[8:11], 0 offen offset:128    // 000000008948: E0701080 80023206
	buffer_store_dword v52, v6, s[8:11], 0 offen offset:256    // 000000008950: E0701100 80023406
	buffer_store_dword v54, v6, s[8:11], 0 offen offset:384    // 000000008958: E0701180 80023606
	buffer_store_dword v56, v6, s[8:11], 0 offen offset:512    // 000000008960: E0701200 80023806
	buffer_store_dword v58, v6, s[8:11], 0 offen offset:640    // 000000008968: E0701280 80023A06
	buffer_store_dword v60, v6, s[8:11], 0 offen offset:768    // 000000008970: E0701300 80023C06
	buffer_store_dword v62, v6, s[8:11], 0 offen offset:896    // 000000008978: E0701380 80023E06
	s_mov_b64 exec, s[36:37]                                   // 000000008980: BEFE0124
	v_mov_b32_e32 v6, v36                                      // 000000008984: 7E0C0324
	s_mov_b64 s[60:61], 0                                      // 000000008988: BEBC0180
	v_readlane_b32 s82, v3, 2                                  // 00000000898C: D2890052 00010503
	s_and_b32 s82, s82, 0xffffff                               // 000000008994: 8652FF52 00FFFFFF
	s_cmp_lt_u32 s82, s66                                      // 00000000899C: BF0A4252
	s_cselect_b32 s20, s36, s60                                // 0000000089A0: 85143C24
	v_readlane_b32 s82, v3, 3                                  // 0000000089A4: D2890052 00010703
	s_and_b32 s82, s82, 0xffffff                               // 0000000089AC: 8652FF52 00FFFFFF
	s_cmp_lt_u32 s82, s66                                      // 0000000089B4: BF0A4252
	s_cselect_b32 s21, s36, s60                                // 0000000089B8: 85153C24
	s_mov_b64 exec, s[20:21]                                   // 0000000089BC: BEFE0114
	buffer_store_dword v49, v6, s[8:11], 0 offen               // 0000000089C0: E0701000 80023106
	buffer_store_dword v51, v6, s[8:11], 0 offen offset:128    // 0000000089C8: E0701080 80023306
	buffer_store_dword v53, v6, s[8:11], 0 offen offset:256    // 0000000089D0: E0701100 80023506
	buffer_store_dword v55, v6, s[8:11], 0 offen offset:384    // 0000000089D8: E0701180 80023706
	buffer_store_dword v57, v6, s[8:11], 0 offen offset:512    // 0000000089E0: E0701200 80023906
	buffer_store_dword v59, v6, s[8:11], 0 offen offset:640    // 0000000089E8: E0701280 80023B06
	buffer_store_dword v61, v6, s[8:11], 0 offen offset:768    // 0000000089F0: E0701300 80023D06
	buffer_store_dword v63, v6, s[8:11], 0 offen offset:896    // 0000000089F8: E0701380 80023F06
	s_mov_b64 exec, s[36:37]                                   // 000000008A00: BEFE0124
	s_branch label_1A1B                                        // 000000008A04: BF820216

0000000000008a08 <label_1805>:
	ds_write_b64 v20, v[48:49]                                 // 000000008A08: D89A0000 00003014
	ds_write_b64 v20, v[52:53] offset:2176                     // 000000008A10: D89A0880 00003414
	ds_write_b64 v20, v[56:57] offset:4352                     // 000000008A18: D89A1100 00003814
	ds_write_b64 v20, v[60:61] offset:6528                     // 000000008A20: D89A1980 00003C14
	ds_write_b64 v20, v[64:65] offset:8704                     // 000000008A28: D89A2200 00004014
	ds_write_b64 v20, v[68:69] offset:10880                    // 000000008A30: D89A2A80 00004414
	ds_write_b64 v20, v[72:73] offset:13056                    // 000000008A38: D89A3300 00004814
	ds_write_b64 v20, v[76:77] offset:15232                    // 000000008A40: D89A3B80 00004C14
	v_lshrrev_b32_e32 v4, 5, v0                                // 000000008A48: 20080085
	v_xor_b32_e32 v5, 1, v4                                    // 000000008A4C: 2A0A0881
	s_mul_i32 s60, s65, 2                                      // 000000008A50: 923C8241
	s_cmp_eq_u32 s88, 0                                        // 000000008A54: BF068058
	s_cselect_b32 s61, 1, 4                                    // 000000008A58: 853D8481
	s_mul_i32 s60, s61, s60                                    // 000000008A5C: 923C3C3D
	v_readlane_b32 s82, v3, 0                                  // 000000008A60: D2890052 00010103
	s_lshr_b32 s61, s82, 24                                    // 000000008A68: 8F3D9852
	s_and_b32 s82, s82, 0xffffff                               // 000000008A6C: 8652FF52 00FFFFFF
	s_mul_i32 s82, s82, s71                                    // 000000008A74: 92524752
	s_mul_i32 s61, s60, s61                                    // 000000008A78: 923D3D3C
	s_add_u32 s82, s82, s61                                    // 000000008A7C: 80523D52
	v_mul_lo_u32 v6, v5, s82                                   // 000000008A80: D2850006 0000A505
	v_readlane_b32 s82, v3, 1                                  // 000000008A88: D2890052 00010303
	s_lshr_b32 s61, s82, 24                                    // 000000008A90: 8F3D9852
	s_and_b32 s82, s82, 0xffffff                               // 000000008A94: 8652FF52 00FFFFFF
	s_mul_i32 s82, s82, s71                                    // 000000008A9C: 92524752
	s_mul_i32 s61, s60, s61                                    // 000000008AA0: 923D3D3C
	s_add_u32 s82, s82, s61                                    // 000000008AA4: 80523D52
	v_mul_lo_u32 v7, v4, s82                                   // 000000008AA8: D2850007 0000A504
	v_add_u32_e32 v35, v6, v7                                  // 000000008AB0: 68460F06
	v_readlane_b32 s82, v3, 2                                  // 000000008AB4: D2890052 00010503
	s_lshr_b32 s61, s82, 24                                    // 000000008ABC: 8F3D9852
	s_and_b32 s82, s82, 0xffffff                               // 000000008AC0: 8652FF52 00FFFFFF
	s_mul_i32 s82, s82, s71                                    // 000000008AC8: 92524752
	s_mul_i32 s61, s60, s61                                    // 000000008ACC: 923D3D3C
	s_add_u32 s82, s82, s61                                    // 000000008AD0: 80523D52
	v_mul_lo_u32 v6, v5, s82                                   // 000000008AD4: D2850006 0000A505
	v_readlane_b32 s82, v3, 3                                  // 000000008ADC: D2890052 00010703
	s_lshr_b32 s61, s82, 24                                    // 000000008AE4: 8F3D9852
	s_and_b32 s82, s82, 0xffffff                               // 000000008AE8: 8652FF52 00FFFFFF
	s_mul_i32 s82, s82, s71                                    // 000000008AF0: 92524752
	s_mul_i32 s61, s60, s61                                    // 000000008AF4: 923D3D3C
	s_add_u32 s82, s82, s61                                    // 000000008AF8: 80523D52
	v_mul_lo_u32 v7, v4, s82                                   // 000000008AFC: D2850007 0000A504
	v_add_u32_e32 v36, v6, v7                                  // 000000008B04: 68480F06
	v_and_b32_e32 v4, 31, v0                                   // 000000008B08: 2608009F
	v_lshrrev_b32_e32 v4, 1, v4                                // 000000008B0C: 20080881
	s_cmp_eq_u32 s88, 0                                        // 000000008B10: BF068058
	s_cselect_b32 s61, 2, 4                                    // 000000008B14: 853D8482
	v_mul_lo_u32 v4, v4, s61                                   // 000000008B18: D2850004 00007B04
	v_and_b32_e64 v5, v0, 1                                    // 000000008B20: D1130005 00010300
	v_add_u32_e32 v4, v4, v5                                   // 000000008B28: 68080B04
	v_lshlrev_b32_e32 v4, 2, v4                                // 000000008B2C: 24080882
	v_add_u32_e32 v35, v35, v4                                 // 000000008B30: 68460923
	v_add_u32_e32 v36, v36, v4                                 // 000000008B34: 68480924
	s_waitcnt lgkmcnt(0)                                       // 000000008B38: BF8CC07F
	s_barrier                                                  // 000000008B3C: BF8A0000
	ds_read_b32 v48, v21                                       // 000000008B40: D86C0000 30000015
	ds_read_b32 v49, v21 offset:64                             // 000000008B48: D86C0040 31000015
	ds_read_b32 v52, v21 offset:2176                           // 000000008B50: D86C0880 34000015
	ds_read_b32 v53, v21 offset:2240                           // 000000008B58: D86C08C0 35000015
	ds_read_b32 v56, v21 offset:4352                           // 000000008B60: D86C1100 38000015
	ds_read_b32 v57, v21 offset:4416                           // 000000008B68: D86C1140 39000015
	ds_read_b32 v60, v21 offset:6528                           // 000000008B70: D86C1980 3C000015
	ds_read_b32 v61, v21 offset:6592                           // 000000008B78: D86C19C0 3D000015
	ds_read_b32 v64, v21 offset:8704                           // 000000008B80: D86C2200 40000015
	ds_read_b32 v65, v21 offset:8768                           // 000000008B88: D86C2240 41000015
	ds_read_b32 v68, v21 offset:10880                          // 000000008B90: D86C2A80 44000015
	ds_read_b32 v69, v21 offset:10944                          // 000000008B98: D86C2AC0 45000015
	ds_read_b32 v72, v21 offset:13056                          // 000000008BA0: D86C3300 48000015
	ds_read_b32 v73, v21 offset:13120                          // 000000008BA8: D86C3340 49000015
	ds_read_b32 v76, v21 offset:15232                          // 000000008BB0: D86C3B80 4C000015
	ds_read_b32 v77, v21 offset:15296                          // 000000008BB8: D86C3BC0 4D000015
	s_waitcnt lgkmcnt(0)                                       // 000000008BC0: BF8CC07F
	s_mov_b32 s36, -1                                          // 000000008BC4: BEA400C1
	s_mov_b32 s37, -1                                          // 000000008BC8: BEA500C1
	v_mov_b32_e32 v7, 0                                        // 000000008BCC: 7E0E0280
	s_mov_b64 exec, s[36:37]                                   // 000000008BD0: BEFE0124
	v_mov_b32_e32 v6, v35                                      // 000000008BD4: 7E0C0323
	s_mov_b64 s[60:61], 0                                      // 000000008BD8: BEBC0180
	v_readlane_b32 s82, v3, 0                                  // 000000008BDC: D2890052 00010103
	s_and_b32 s82, s82, 0xffffff                               // 000000008BE4: 8652FF52 00FFFFFF
	s_cmp_lt_u32 s82, s66                                      // 000000008BEC: BF0A4252
	s_cselect_b32 s20, s36, s60                                // 000000008BF0: 85143C24
	v_readlane_b32 s82, v3, 1                                  // 000000008BF4: D2890052 00010303
	s_and_b32 s82, s82, 0xffffff                               // 000000008BFC: 8652FF52 00FFFFFF
	s_cmp_lt_u32 s82, s66                                      // 000000008C04: BF0A4252
	s_cselect_b32 s21, s36, s60                                // 000000008C08: 85153C24
	s_mov_b64 exec, s[20:21]                                   // 000000008C0C: BEFE0114
	global_atomic_add_f32 v6, v48, s[8:9]                      // 000000008C10: DD348000 00083006
	global_atomic_add_f32 v6, v52, s[8:9] offset:256           // 000000008C18: DD348100 00083406
	global_atomic_add_f32 v6, v56, s[8:9] offset:512           // 000000008C20: DD348200 00083806
	global_atomic_add_f32 v6, v60, s[8:9] offset:768           // 000000008C28: DD348300 00083C06
	global_atomic_add_f32 v6, v64, s[8:9] offset:1024          // 000000008C30: DD348400 00084006
	global_atomic_add_f32 v6, v68, s[8:9] offset:1280          // 000000008C38: DD348500 00084406
	global_atomic_add_f32 v6, v72, s[8:9] offset:1536          // 000000008C40: DD348600 00084806
	global_atomic_add_f32 v6, v76, s[8:9] offset:1792          // 000000008C48: DD348700 00084C06
	s_mov_b64 exec, s[36:37]                                   // 000000008C50: BEFE0124
	v_mov_b32_e32 v6, v36                                      // 000000008C54: 7E0C0324
	s_mov_b64 s[60:61], 0                                      // 000000008C58: BEBC0180
	v_readlane_b32 s82, v3, 2                                  // 000000008C5C: D2890052 00010503
	s_and_b32 s82, s82, 0xffffff                               // 000000008C64: 8652FF52 00FFFFFF
	s_cmp_lt_u32 s82, s66                                      // 000000008C6C: BF0A4252
	s_cselect_b32 s20, s36, s60                                // 000000008C70: 85143C24
	v_readlane_b32 s82, v3, 3                                  // 000000008C74: D2890052 00010703
	s_and_b32 s82, s82, 0xffffff                               // 000000008C7C: 8652FF52 00FFFFFF
	s_cmp_lt_u32 s82, s66                                      // 000000008C84: BF0A4252
	s_cselect_b32 s21, s36, s60                                // 000000008C88: 85153C24
	s_mov_b64 exec, s[20:21]                                   // 000000008C8C: BEFE0114
	global_atomic_add_f32 v6, v49, s[8:9]                      // 000000008C90: DD348000 00083106
	global_atomic_add_f32 v6, v53, s[8:9] offset:256           // 000000008C98: DD348100 00083506
	global_atomic_add_f32 v6, v57, s[8:9] offset:512           // 000000008CA0: DD348200 00083906
	global_atomic_add_f32 v6, v61, s[8:9] offset:768           // 000000008CA8: DD348300 00083D06
	global_atomic_add_f32 v6, v65, s[8:9] offset:1024          // 000000008CB0: DD348400 00084106
	global_atomic_add_f32 v6, v69, s[8:9] offset:1280          // 000000008CB8: DD348500 00084506
	global_atomic_add_f32 v6, v73, s[8:9] offset:1536          // 000000008CC0: DD348600 00084906
	global_atomic_add_f32 v6, v77, s[8:9] offset:1792          // 000000008CC8: DD348700 00084D06
	s_mov_b64 exec, s[36:37]                                   // 000000008CD0: BEFE0124
	ds_write_b64 v20, v[50:51]                                 // 000000008CD4: D89A0000 00003214
	ds_write_b64 v20, v[54:55] offset:2176                     // 000000008CDC: D89A0880 00003614
	ds_write_b64 v20, v[58:59] offset:4352                     // 000000008CE4: D89A1100 00003A14
	ds_write_b64 v20, v[62:63] offset:6528                     // 000000008CEC: D89A1980 00003E14
	ds_write_b64 v20, v[66:67] offset:8704                     // 000000008CF4: D89A2200 00004214
	ds_write_b64 v20, v[70:71] offset:10880                    // 000000008CFC: D89A2A80 00004614
	ds_write_b64 v20, v[74:75] offset:13056                    // 000000008D04: D89A3300 00004A14
	ds_write_b64 v20, v[78:79] offset:15232                    // 000000008D0C: D89A3B80 00004E14
	s_waitcnt lgkmcnt(0)                                       // 000000008D14: BF8CC07F
	s_barrier                                                  // 000000008D18: BF8A0000
	ds_read_b32 v50, v21                                       // 000000008D1C: D86C0000 32000015
	ds_read_b32 v51, v21 offset:64                             // 000000008D24: D86C0040 33000015
	ds_read_b32 v54, v21 offset:2176                           // 000000008D2C: D86C0880 36000015
	ds_read_b32 v55, v21 offset:2240                           // 000000008D34: D86C08C0 37000015
	ds_read_b32 v58, v21 offset:4352                           // 000000008D3C: D86C1100 3A000015
	ds_read_b32 v59, v21 offset:4416                           // 000000008D44: D86C1140 3B000015
	ds_read_b32 v62, v21 offset:6528                           // 000000008D4C: D86C1980 3E000015
	ds_read_b32 v63, v21 offset:6592                           // 000000008D54: D86C19C0 3F000015
	ds_read_b32 v66, v21 offset:8704                           // 000000008D5C: D86C2200 42000015
	ds_read_b32 v67, v21 offset:8768                           // 000000008D64: D86C2240 43000015
	ds_read_b32 v70, v21 offset:10880                          // 000000008D6C: D86C2A80 46000015
	ds_read_b32 v71, v21 offset:10944                          // 000000008D74: D86C2AC0 47000015
	ds_read_b32 v74, v21 offset:13056                          // 000000008D7C: D86C3300 4A000015
	ds_read_b32 v75, v21 offset:13120                          // 000000008D84: D86C3340 4B000015
	ds_read_b32 v78, v21 offset:15232                          // 000000008D8C: D86C3B80 4E000015
	ds_read_b32 v79, v21 offset:15296                          // 000000008D94: D86C3BC0 4F000015
	s_waitcnt lgkmcnt(0)                                       // 000000008D9C: BF8CC07F
	v_mov_b32_e32 v7, 0                                        // 000000008DA0: 7E0E0280
	s_mov_b64 exec, s[36:37]                                   // 000000008DA4: BEFE0124
	v_mov_b32_e32 v6, v35                                      // 000000008DA8: 7E0C0323
	s_mov_b64 s[60:61], 0                                      // 000000008DAC: BEBC0180
	v_readlane_b32 s82, v3, 0                                  // 000000008DB0: D2890052 00010103
	s_and_b32 s82, s82, 0xffffff                               // 000000008DB8: 8652FF52 00FFFFFF
	s_cmp_lt_u32 s82, s66                                      // 000000008DC0: BF0A4252
	s_cselect_b32 s20, s36, s60                                // 000000008DC4: 85143C24
	v_readlane_b32 s82, v3, 1                                  // 000000008DC8: D2890052 00010303
	s_and_b32 s82, s82, 0xffffff                               // 000000008DD0: 8652FF52 00FFFFFF
	s_cmp_lt_u32 s82, s66                                      // 000000008DD8: BF0A4252
	s_cselect_b32 s21, s36, s60                                // 000000008DDC: 85153C24
	s_mov_b64 exec, s[20:21]                                   // 000000008DE0: BEFE0114
	global_atomic_add_f32 v6, v50, s[8:9] offset:8             // 000000008DE4: DD348008 00083206
	global_atomic_add_f32 v6, v54, s[8:9] offset:264           // 000000008DEC: DD348108 00083606
	global_atomic_add_f32 v6, v58, s[8:9] offset:520           // 000000008DF4: DD348208 00083A06
	global_atomic_add_f32 v6, v62, s[8:9] offset:776           // 000000008DFC: DD348308 00083E06
	global_atomic_add_f32 v6, v66, s[8:9] offset:1032          // 000000008E04: DD348408 00084206
	global_atomic_add_f32 v6, v70, s[8:9] offset:1288          // 000000008E0C: DD348508 00084606
	global_atomic_add_f32 v6, v74, s[8:9] offset:1544          // 000000008E14: DD348608 00084A06
	global_atomic_add_f32 v6, v78, s[8:9] offset:1800          // 000000008E1C: DD348708 00084E06
	s_mov_b64 exec, s[36:37]                                   // 000000008E24: BEFE0124
	v_mov_b32_e32 v6, v36                                      // 000000008E28: 7E0C0324
	s_mov_b64 s[60:61], 0                                      // 000000008E2C: BEBC0180
	v_readlane_b32 s82, v3, 2                                  // 000000008E30: D2890052 00010503
	s_and_b32 s82, s82, 0xffffff                               // 000000008E38: 8652FF52 00FFFFFF
	s_cmp_lt_u32 s82, s66                                      // 000000008E40: BF0A4252
	s_cselect_b32 s20, s36, s60                                // 000000008E44: 85143C24
	v_readlane_b32 s82, v3, 3                                  // 000000008E48: D2890052 00010703
	s_and_b32 s82, s82, 0xffffff                               // 000000008E50: 8652FF52 00FFFFFF
	s_cmp_lt_u32 s82, s66                                      // 000000008E58: BF0A4252
	s_cselect_b32 s21, s36, s60                                // 000000008E5C: 85153C24
	s_mov_b64 exec, s[20:21]                                   // 000000008E60: BEFE0114
	global_atomic_add_f32 v6, v51, s[8:9] offset:8             // 000000008E64: DD348008 00083306
	global_atomic_add_f32 v6, v55, s[8:9] offset:264           // 000000008E6C: DD348108 00083706
	global_atomic_add_f32 v6, v59, s[8:9] offset:520           // 000000008E74: DD348208 00083B06
	global_atomic_add_f32 v6, v63, s[8:9] offset:776           // 000000008E7C: DD348308 00083F06
	global_atomic_add_f32 v6, v67, s[8:9] offset:1032          // 000000008E84: DD348408 00084306
	global_atomic_add_f32 v6, v71, s[8:9] offset:1288          // 000000008E8C: DD348508 00084706
	global_atomic_add_f32 v6, v75, s[8:9] offset:1544          // 000000008E94: DD348608 00084B06
	global_atomic_add_f32 v6, v79, s[8:9] offset:1800          // 000000008E9C: DD348708 00084F06
	s_mov_b64 exec, s[36:37]                                   // 000000008EA4: BEFE0124
	ds_write_b64 v20, v[80:81]                                 // 000000008EA8: D89A0000 00005014
	ds_write_b64 v20, v[84:85] offset:2176                     // 000000008EB0: D89A0880 00005414
	ds_write_b64 v20, v[88:89] offset:4352                     // 000000008EB8: D89A1100 00005814
	ds_write_b64 v20, v[92:93] offset:6528                     // 000000008EC0: D89A1980 00005C14
	ds_write_b64 v20, v[96:97] offset:8704                     // 000000008EC8: D89A2200 00006014
	ds_write_b64 v20, v[100:101] offset:10880                  // 000000008ED0: D89A2A80 00006414
	ds_write_b64 v20, v[104:105] offset:13056                  // 000000008ED8: D89A3300 00006814
	ds_write_b64 v20, v[108:109] offset:15232                  // 000000008EE0: D89A3B80 00006C14
	s_waitcnt lgkmcnt(0)                                       // 000000008EE8: BF8CC07F
	s_barrier                                                  // 000000008EEC: BF8A0000
	ds_read_b32 v80, v21                                       // 000000008EF0: D86C0000 50000015
	ds_read_b32 v81, v21 offset:64                             // 000000008EF8: D86C0040 51000015
	ds_read_b32 v84, v21 offset:2176                           // 000000008F00: D86C0880 54000015
	ds_read_b32 v85, v21 offset:2240                           // 000000008F08: D86C08C0 55000015
	ds_read_b32 v88, v21 offset:4352                           // 000000008F10: D86C1100 58000015
	ds_read_b32 v89, v21 offset:4416                           // 000000008F18: D86C1140 59000015
	ds_read_b32 v92, v21 offset:6528                           // 000000008F20: D86C1980 5C000015
	ds_read_b32 v93, v21 offset:6592                           // 000000008F28: D86C19C0 5D000015
	ds_read_b32 v96, v21 offset:8704                           // 000000008F30: D86C2200 60000015
	ds_read_b32 v97, v21 offset:8768                           // 000000008F38: D86C2240 61000015
	ds_read_b32 v100, v21 offset:10880                         // 000000008F40: D86C2A80 64000015
	ds_read_b32 v101, v21 offset:10944                         // 000000008F48: D86C2AC0 65000015
	ds_read_b32 v104, v21 offset:13056                         // 000000008F50: D86C3300 68000015
	ds_read_b32 v105, v21 offset:13120                         // 000000008F58: D86C3340 69000015
	ds_read_b32 v108, v21 offset:15232                         // 000000008F60: D86C3B80 6C000015
	ds_read_b32 v109, v21 offset:15296                         // 000000008F68: D86C3BC0 6D000015
	s_mul_i32 s60, s65, 4                                      // 000000008F70: 923C8441
	s_add_u32 s8, s60, s8                                      // 000000008F74: 8008083C
	s_addc_u32 s9, 0, s9                                       // 000000008F78: 82090980
	s_waitcnt lgkmcnt(0)                                       // 000000008F7C: BF8CC07F
	v_mov_b32_e32 v7, 0                                        // 000000008F80: 7E0E0280
	s_mov_b64 exec, s[36:37]                                   // 000000008F84: BEFE0124
	v_mov_b32_e32 v6, v35                                      // 000000008F88: 7E0C0323
	s_mov_b64 s[60:61], 0                                      // 000000008F8C: BEBC0180
	v_readlane_b32 s82, v3, 0                                  // 000000008F90: D2890052 00010103
	s_and_b32 s82, s82, 0xffffff                               // 000000008F98: 8652FF52 00FFFFFF
	s_cmp_lt_u32 s82, s66                                      // 000000008FA0: BF0A4252
	s_cselect_b32 s20, s36, s60                                // 000000008FA4: 85143C24
	v_readlane_b32 s82, v3, 1                                  // 000000008FA8: D2890052 00010303
	s_and_b32 s82, s82, 0xffffff                               // 000000008FB0: 8652FF52 00FFFFFF
	s_cmp_lt_u32 s82, s66                                      // 000000008FB8: BF0A4252
	s_cselect_b32 s21, s36, s60                                // 000000008FBC: 85153C24
	s_mov_b64 exec, s[20:21]                                   // 000000008FC0: BEFE0114
	global_atomic_add_f32 v6, v80, s[8:9]                      // 000000008FC4: DD348000 00085006
	global_atomic_add_f32 v6, v84, s[8:9] offset:256           // 000000008FCC: DD348100 00085406
	global_atomic_add_f32 v6, v88, s[8:9] offset:512           // 000000008FD4: DD348200 00085806
	global_atomic_add_f32 v6, v92, s[8:9] offset:768           // 000000008FDC: DD348300 00085C06
	global_atomic_add_f32 v6, v96, s[8:9] offset:1024          // 000000008FE4: DD348400 00086006
	global_atomic_add_f32 v6, v100, s[8:9] offset:1280         // 000000008FEC: DD348500 00086406
	global_atomic_add_f32 v6, v104, s[8:9] offset:1536         // 000000008FF4: DD348600 00086806
	global_atomic_add_f32 v6, v108, s[8:9] offset:1792         // 000000008FFC: DD348700 00086C06
	s_mov_b64 exec, s[36:37]                                   // 000000009004: BEFE0124
	v_mov_b32_e32 v6, v36                                      // 000000009008: 7E0C0324
	s_mov_b64 s[60:61], 0                                      // 00000000900C: BEBC0180
	v_readlane_b32 s82, v3, 2                                  // 000000009010: D2890052 00010503
	s_and_b32 s82, s82, 0xffffff                               // 000000009018: 8652FF52 00FFFFFF
	s_cmp_lt_u32 s82, s66                                      // 000000009020: BF0A4252
	s_cselect_b32 s20, s36, s60                                // 000000009024: 85143C24
	v_readlane_b32 s82, v3, 3                                  // 000000009028: D2890052 00010703
	s_and_b32 s82, s82, 0xffffff                               // 000000009030: 8652FF52 00FFFFFF
	s_cmp_lt_u32 s82, s66                                      // 000000009038: BF0A4252
	s_cselect_b32 s21, s36, s60                                // 00000000903C: 85153C24
	s_mov_b64 exec, s[20:21]                                   // 000000009040: BEFE0114
	global_atomic_add_f32 v6, v81, s[8:9]                      // 000000009044: DD348000 00085106
	global_atomic_add_f32 v6, v85, s[8:9] offset:256           // 00000000904C: DD348100 00085506
	global_atomic_add_f32 v6, v89, s[8:9] offset:512           // 000000009054: DD348200 00085906
	global_atomic_add_f32 v6, v93, s[8:9] offset:768           // 00000000905C: DD348300 00085D06
	global_atomic_add_f32 v6, v97, s[8:9] offset:1024          // 000000009064: DD348400 00086106
	global_atomic_add_f32 v6, v101, s[8:9] offset:1280         // 00000000906C: DD348500 00086506
	global_atomic_add_f32 v6, v105, s[8:9] offset:1536         // 000000009074: DD348600 00086906
	global_atomic_add_f32 v6, v109, s[8:9] offset:1792         // 00000000907C: DD348700 00086D06
	s_mov_b64 exec, s[36:37]                                   // 000000009084: BEFE0124
	ds_write_b64 v20, v[82:83]                                 // 000000009088: D89A0000 00005214
	ds_write_b64 v20, v[86:87] offset:2176                     // 000000009090: D89A0880 00005614
	ds_write_b64 v20, v[90:91] offset:4352                     // 000000009098: D89A1100 00005A14
	ds_write_b64 v20, v[94:95] offset:6528                     // 0000000090A0: D89A1980 00005E14
	ds_write_b64 v20, v[98:99] offset:8704                     // 0000000090A8: D89A2200 00006214
	ds_write_b64 v20, v[102:103] offset:10880                  // 0000000090B0: D89A2A80 00006614
	ds_write_b64 v20, v[106:107] offset:13056                  // 0000000090B8: D89A3300 00006A14
	ds_write_b64 v20, v[110:111] offset:15232                  // 0000000090C0: D89A3B80 00006E14
	s_waitcnt lgkmcnt(0)                                       // 0000000090C8: BF8CC07F
	s_barrier                                                  // 0000000090CC: BF8A0000
	ds_read_b32 v82, v21                                       // 0000000090D0: D86C0000 52000015
	ds_read_b32 v83, v21 offset:64                             // 0000000090D8: D86C0040 53000015
	ds_read_b32 v86, v21 offset:2176                           // 0000000090E0: D86C0880 56000015
	ds_read_b32 v87, v21 offset:2240                           // 0000000090E8: D86C08C0 57000015
	ds_read_b32 v90, v21 offset:4352                           // 0000000090F0: D86C1100 5A000015
	ds_read_b32 v91, v21 offset:4416                           // 0000000090F8: D86C1140 5B000015
	ds_read_b32 v94, v21 offset:6528                           // 000000009100: D86C1980 5E000015
	ds_read_b32 v95, v21 offset:6592                           // 000000009108: D86C19C0 5F000015
	ds_read_b32 v98, v21 offset:8704                           // 000000009110: D86C2200 62000015
	ds_read_b32 v99, v21 offset:8768                           // 000000009118: D86C2240 63000015
	ds_read_b32 v102, v21 offset:10880                         // 000000009120: D86C2A80 66000015
	ds_read_b32 v103, v21 offset:10944                         // 000000009128: D86C2AC0 67000015
	ds_read_b32 v106, v21 offset:13056                         // 000000009130: D86C3300 6A000015
	ds_read_b32 v107, v21 offset:13120                         // 000000009138: D86C3340 6B000015
	ds_read_b32 v110, v21 offset:15232                         // 000000009140: D86C3B80 6E000015
	ds_read_b32 v111, v21 offset:15296                         // 000000009148: D86C3BC0 6F000015
	s_waitcnt lgkmcnt(0)                                       // 000000009150: BF8CC07F
	v_mov_b32_e32 v7, 0                                        // 000000009154: 7E0E0280
	s_mov_b64 exec, s[36:37]                                   // 000000009158: BEFE0124
	v_mov_b32_e32 v6, v35                                      // 00000000915C: 7E0C0323
	s_mov_b64 s[60:61], 0                                      // 000000009160: BEBC0180
	v_readlane_b32 s82, v3, 0                                  // 000000009164: D2890052 00010103
	s_and_b32 s82, s82, 0xffffff                               // 00000000916C: 8652FF52 00FFFFFF
	s_cmp_lt_u32 s82, s66                                      // 000000009174: BF0A4252
	s_cselect_b32 s20, s36, s60                                // 000000009178: 85143C24
	v_readlane_b32 s82, v3, 1                                  // 00000000917C: D2890052 00010303
	s_and_b32 s82, s82, 0xffffff                               // 000000009184: 8652FF52 00FFFFFF
	s_cmp_lt_u32 s82, s66                                      // 00000000918C: BF0A4252
	s_cselect_b32 s21, s36, s60                                // 000000009190: 85153C24
	s_mov_b64 exec, s[20:21]                                   // 000000009194: BEFE0114
	global_atomic_add_f32 v6, v82, s[8:9] offset:8             // 000000009198: DD348008 00085206
	global_atomic_add_f32 v6, v86, s[8:9] offset:264           // 0000000091A0: DD348108 00085606
	global_atomic_add_f32 v6, v90, s[8:9] offset:520           // 0000000091A8: DD348208 00085A06
	global_atomic_add_f32 v6, v94, s[8:9] offset:776           // 0000000091B0: DD348308 00085E06
	global_atomic_add_f32 v6, v98, s[8:9] offset:1032          // 0000000091B8: DD348408 00086206
	global_atomic_add_f32 v6, v102, s[8:9] offset:1288         // 0000000091C0: DD348508 00086606
	global_atomic_add_f32 v6, v106, s[8:9] offset:1544         // 0000000091C8: DD348608 00086A06
	global_atomic_add_f32 v6, v110, s[8:9] offset:1800         // 0000000091D0: DD348708 00086E06
	s_mov_b64 exec, s[36:37]                                   // 0000000091D8: BEFE0124
	v_mov_b32_e32 v6, v36                                      // 0000000091DC: 7E0C0324
	s_mov_b64 s[60:61], 0                                      // 0000000091E0: BEBC0180
	v_readlane_b32 s82, v3, 2                                  // 0000000091E4: D2890052 00010503
	s_and_b32 s82, s82, 0xffffff                               // 0000000091EC: 8652FF52 00FFFFFF
	s_cmp_lt_u32 s82, s66                                      // 0000000091F4: BF0A4252
	s_cselect_b32 s20, s36, s60                                // 0000000091F8: 85143C24
	v_readlane_b32 s82, v3, 3                                  // 0000000091FC: D2890052 00010703
	s_and_b32 s82, s82, 0xffffff                               // 000000009204: 8652FF52 00FFFFFF
	s_cmp_lt_u32 s82, s66                                      // 00000000920C: BF0A4252
	s_cselect_b32 s21, s36, s60                                // 000000009210: 85153C24
	s_mov_b64 exec, s[20:21]                                   // 000000009214: BEFE0114
	global_atomic_add_f32 v6, v83, s[8:9] offset:8             // 000000009218: DD348008 00085306
	global_atomic_add_f32 v6, v87, s[8:9] offset:264           // 000000009220: DD348108 00085706
	global_atomic_add_f32 v6, v91, s[8:9] offset:520           // 000000009228: DD348208 00085B06
	global_atomic_add_f32 v6, v95, s[8:9] offset:776           // 000000009230: DD348308 00085F06
	global_atomic_add_f32 v6, v99, s[8:9] offset:1032          // 000000009238: DD348408 00086306
	global_atomic_add_f32 v6, v103, s[8:9] offset:1288         // 000000009240: DD348508 00086706
	global_atomic_add_f32 v6, v107, s[8:9] offset:1544         // 000000009248: DD348608 00086B06
	global_atomic_add_f32 v6, v111, s[8:9] offset:1800         // 000000009250: DD348708 00086F06
	s_mov_b64 exec, s[36:37]                                   // 000000009258: BEFE0124
	s_branch label_1A1B                                        // 00000000925C: BF820000

0000000000009260 <label_1A1B>:
	s_waitcnt vmcnt(0) expcnt(0) lgkmcnt(0)                    // 000000009260: BF8C0000
	s_endpgm                                                   // 000000009264: BF810000
